;; amdgpu-corpus repo=triton-lang/triton kind=triton arch=gfx90a opt=O3 lang=triton
	.amdgcn_target "amdgcn-amd-amdhsa--gfx90a"
	.amdhsa_code_object_version 5
	.text
	.globl	attention_fwd_kernel            ; -- Begin function attention_fwd_kernel
	.p2align	8
	.type	attention_fwd_kernel,@function
attention_fwd_kernel:                   ; @attention_fwd_kernel
.Lfunc_begin0:
	.cfi_sections .debug_frame
	.cfi_startproc
; %bb.105:
	.file	1 "/root/src/amdgpu-assembly/repos/triton-lang__triton-aot" "attention_fwd.py"
	.loc	1 8 0 prologue_end              ; attention_fwd.py:8:0
	s_load_dwordx2 s[6:7], s[4:5], 0x0
	s_load_dwordx8 s[8:15], s[4:5], 0x8
	s_waitcnt lgkmcnt(0)
	s_branch .LBB0_0
	.loc	1 0 0 is_stmt 0                 ; :0:0
.Ltmp0:
	.p2align	8
; %bb.106:
.LBB0_0:
                                        ; implicit-def: $vgpr213 : SGPR spill to VGPR lane
	s_load_dword s0, s[4:5], 0x28
	v_writelane_b32 v213, s12, 0
	v_writelane_b32 v213, s13, 1
	v_writelane_b32 v213, s4, 2
	s_load_dword s33, s[4:5], 0x44
.Ltmp1:
	.loc	1 20 54 is_stmt 1               ; attention_fwd.py:20:54
	v_and_b32_e32 v1, 63, v0
	.loc	1 17 23                         ; attention_fwd.py:17:23
	s_lshl_b32 s1, s16, 6
	.loc	1 17 46 is_stmt 0               ; attention_fwd.py:17:46
	v_lshrrev_b32_e32 v52, 6, v0
	.loc	1 20 65 is_stmt 1               ; attention_fwd.py:20:65
	s_waitcnt lgkmcnt(0)
	v_mul_lo_u32 v2, s0, v1
	.loc	1 17 33                         ; attention_fwd.py:17:33
	v_or_b32_e32 v4, s1, v52
	.loc	1 20 47                         ; attention_fwd.py:20:47
	v_ashrrev_i32_e32 v3, 31, v2
	v_writelane_b32 v213, s5, 3
	.loc	1 21 47                         ; attention_fwd.py:21:47
	v_cmp_gt_i32_e32 vcc, s33, v4
	v_mov_b32_e32 v6, 0
	v_lshlrev_b64 v[2:3], 1, v[2:3]
	v_mov_b32_e32 v7, 0
	v_writelane_b32 v213, s1, 4
	.loc	1 21 16 is_stmt 0               ; attention_fwd.py:21:16
	s_and_saveexec_b64 s[0:1], vcc
	s_cbranch_execz .LBB0_2
; %bb.1:
	.loc	1 0 16                          ; attention_fwd.py:0:16
	v_mul_lo_u32 v4, s15, v4
	v_ashrrev_i32_e32 v5, 31, v4
	v_lshlrev_b64 v[4:5], 1, v[4:5]
	v_mov_b32_e32 v7, s7
	v_add_co_u32_e32 v4, vcc, s6, v4
	v_addc_co_u32_e32 v5, vcc, v7, v5, vcc
	v_add_co_u32_e32 v4, vcc, v4, v2
	v_addc_co_u32_e32 v5, vcc, v5, v3, vcc
	.loc	1 21 16                         ; attention_fwd.py:21:16
	global_load_ushort v7, v[4:5], off
.LBB0_2:
	.loc	1 0 16                          ; attention_fwd.py:0:16
	s_or_b64 exec, exec, s[0:1]
	.loc	1 17 33 is_stmt 1               ; attention_fwd.py:17:33
	v_readlane_b32 s0, v213, 4
	v_or3_b32 v4, v52, s0, 4
	.loc	1 21 47                         ; attention_fwd.py:21:47
	v_cmp_gt_i32_e32 vcc, s33, v4
	.loc	1 21 16 is_stmt 0               ; attention_fwd.py:21:16
	s_and_saveexec_b64 s[0:1], vcc
	s_cbranch_execz .LBB0_4
; %bb.3:
	.loc	1 20 35 is_stmt 1               ; attention_fwd.py:20:35
	v_mul_lo_u32 v4, s15, v4
	.loc	1 20 17 is_stmt 0               ; attention_fwd.py:20:17
	v_ashrrev_i32_e32 v5, 31, v4
	v_lshlrev_b64 v[4:5], 1, v[4:5]
	v_mov_b32_e32 v6, s7
	v_add_co_u32_e32 v4, vcc, s6, v4
	v_addc_co_u32_e32 v5, vcc, v6, v5, vcc
	.loc	1 20 47                         ; attention_fwd.py:20:47
	v_add_co_u32_e32 v4, vcc, v4, v2
	v_addc_co_u32_e32 v5, vcc, v5, v3, vcc
	.loc	1 21 16 is_stmt 1               ; attention_fwd.py:21:16
	global_load_ushort v6, v[4:5], off
.LBB0_4:
	.loc	1 0 16 is_stmt 0                ; attention_fwd.py:0:16
	s_or_b64 exec, exec, s[0:1]
	.loc	1 17 33 is_stmt 1               ; attention_fwd.py:17:33
	v_readlane_b32 s0, v213, 4
	v_or3_b32 v4, v52, s0, 8
	.loc	1 21 47                         ; attention_fwd.py:21:47
	v_cmp_gt_i32_e32 vcc, s33, v4
	v_mov_b32_e32 v8, 0
	v_mov_b32_e32 v9, 0
	.loc	1 21 16 is_stmt 0               ; attention_fwd.py:21:16
	s_and_saveexec_b64 s[0:1], vcc
	s_cbranch_execz .LBB0_6
; %bb.5:
	.loc	1 20 35 is_stmt 1               ; attention_fwd.py:20:35
	v_mul_lo_u32 v4, s15, v4
	.loc	1 20 17 is_stmt 0               ; attention_fwd.py:20:17
	v_ashrrev_i32_e32 v5, 31, v4
	v_lshlrev_b64 v[4:5], 1, v[4:5]
	v_mov_b32_e32 v9, s7
	v_add_co_u32_e32 v4, vcc, s6, v4
	v_addc_co_u32_e32 v5, vcc, v9, v5, vcc
	.loc	1 20 47                         ; attention_fwd.py:20:47
	v_add_co_u32_e32 v4, vcc, v4, v2
	v_addc_co_u32_e32 v5, vcc, v5, v3, vcc
	.loc	1 21 16 is_stmt 1               ; attention_fwd.py:21:16
	global_load_ushort v9, v[4:5], off
.LBB0_6:
	.loc	1 0 16 is_stmt 0                ; attention_fwd.py:0:16
	s_or_b64 exec, exec, s[0:1]
	.loc	1 17 33 is_stmt 1               ; attention_fwd.py:17:33
	v_readlane_b32 s0, v213, 4
	v_or3_b32 v4, v52, s0, 12
	.loc	1 21 47                         ; attention_fwd.py:21:47
	v_cmp_gt_i32_e32 vcc, s33, v4
	.loc	1 21 16 is_stmt 0               ; attention_fwd.py:21:16
	s_and_saveexec_b64 s[0:1], vcc
	s_cbranch_execz .LBB0_8
; %bb.7:
	.loc	1 20 35 is_stmt 1               ; attention_fwd.py:20:35
	v_mul_lo_u32 v4, s15, v4
	.loc	1 20 17 is_stmt 0               ; attention_fwd.py:20:17
	v_ashrrev_i32_e32 v5, 31, v4
	v_lshlrev_b64 v[4:5], 1, v[4:5]
	v_mov_b32_e32 v8, s7
	v_add_co_u32_e32 v4, vcc, s6, v4
	v_addc_co_u32_e32 v5, vcc, v8, v5, vcc
	.loc	1 20 47                         ; attention_fwd.py:20:47
	v_add_co_u32_e32 v4, vcc, v4, v2
	v_addc_co_u32_e32 v5, vcc, v5, v3, vcc
	.loc	1 21 16 is_stmt 1               ; attention_fwd.py:21:16
	global_load_ushort v8, v[4:5], off
.LBB0_8:
	.loc	1 0 16 is_stmt 0                ; attention_fwd.py:0:16
	s_or_b64 exec, exec, s[0:1]
	.loc	1 17 33 is_stmt 1               ; attention_fwd.py:17:33
	v_readlane_b32 s0, v213, 4
	v_or3_b32 v4, v52, s0, 16
	.loc	1 21 47                         ; attention_fwd.py:21:47
	v_cmp_gt_i32_e32 vcc, s33, v4
	v_mov_b32_e32 v10, 0
	v_mov_b32_e32 v11, 0
	.loc	1 21 16 is_stmt 0               ; attention_fwd.py:21:16
	s_and_saveexec_b64 s[0:1], vcc
	s_cbranch_execz .LBB0_10
; %bb.9:
	.loc	1 20 35 is_stmt 1               ; attention_fwd.py:20:35
	v_mul_lo_u32 v4, s15, v4
	.loc	1 20 17 is_stmt 0               ; attention_fwd.py:20:17
	v_ashrrev_i32_e32 v5, 31, v4
	v_lshlrev_b64 v[4:5], 1, v[4:5]
	v_mov_b32_e32 v11, s7
	v_add_co_u32_e32 v4, vcc, s6, v4
	v_addc_co_u32_e32 v5, vcc, v11, v5, vcc
	.loc	1 20 47                         ; attention_fwd.py:20:47
	v_add_co_u32_e32 v4, vcc, v4, v2
	v_addc_co_u32_e32 v5, vcc, v5, v3, vcc
	.loc	1 21 16 is_stmt 1               ; attention_fwd.py:21:16
	global_load_ushort v11, v[4:5], off
.LBB0_10:
	.loc	1 0 16 is_stmt 0                ; attention_fwd.py:0:16
	s_or_b64 exec, exec, s[0:1]
	.loc	1 17 33 is_stmt 1               ; attention_fwd.py:17:33
	v_readlane_b32 s0, v213, 4
	v_or3_b32 v4, v52, s0, 20
	.loc	1 21 47                         ; attention_fwd.py:21:47
	v_cmp_gt_i32_e32 vcc, s33, v4
	.loc	1 21 16 is_stmt 0               ; attention_fwd.py:21:16
	s_and_saveexec_b64 s[0:1], vcc
	s_cbranch_execz .LBB0_12
; %bb.11:
	.loc	1 20 35 is_stmt 1               ; attention_fwd.py:20:35
	v_mul_lo_u32 v4, s15, v4
	.loc	1 20 17 is_stmt 0               ; attention_fwd.py:20:17
	v_ashrrev_i32_e32 v5, 31, v4
	v_lshlrev_b64 v[4:5], 1, v[4:5]
	v_mov_b32_e32 v10, s7
	v_add_co_u32_e32 v4, vcc, s6, v4
	v_addc_co_u32_e32 v5, vcc, v10, v5, vcc
	.loc	1 20 47                         ; attention_fwd.py:20:47
	v_add_co_u32_e32 v4, vcc, v4, v2
	v_addc_co_u32_e32 v5, vcc, v5, v3, vcc
	.loc	1 21 16 is_stmt 1               ; attention_fwd.py:21:16
	global_load_ushort v10, v[4:5], off
.LBB0_12:
	.loc	1 0 16 is_stmt 0                ; attention_fwd.py:0:16
	s_or_b64 exec, exec, s[0:1]
	.loc	1 17 33 is_stmt 1               ; attention_fwd.py:17:33
	v_readlane_b32 s0, v213, 4
	v_or3_b32 v4, v52, s0, 24
	.loc	1 21 47                         ; attention_fwd.py:21:47
	v_cmp_gt_i32_e32 vcc, s33, v4
	v_mov_b32_e32 v12, 0
	v_mov_b32_e32 v13, 0
	.loc	1 21 16 is_stmt 0               ; attention_fwd.py:21:16
	s_and_saveexec_b64 s[0:1], vcc
	s_cbranch_execz .LBB0_14
; %bb.13:
	.loc	1 20 35 is_stmt 1               ; attention_fwd.py:20:35
	v_mul_lo_u32 v4, s15, v4
	.loc	1 20 17 is_stmt 0               ; attention_fwd.py:20:17
	v_ashrrev_i32_e32 v5, 31, v4
	v_lshlrev_b64 v[4:5], 1, v[4:5]
	v_mov_b32_e32 v13, s7
	v_add_co_u32_e32 v4, vcc, s6, v4
	v_addc_co_u32_e32 v5, vcc, v13, v5, vcc
	.loc	1 20 47                         ; attention_fwd.py:20:47
	v_add_co_u32_e32 v4, vcc, v4, v2
	v_addc_co_u32_e32 v5, vcc, v5, v3, vcc
	.loc	1 21 16 is_stmt 1               ; attention_fwd.py:21:16
	global_load_ushort v13, v[4:5], off
.LBB0_14:
	.loc	1 0 16 is_stmt 0                ; attention_fwd.py:0:16
	s_or_b64 exec, exec, s[0:1]
	.loc	1 17 33 is_stmt 1               ; attention_fwd.py:17:33
	v_readlane_b32 s0, v213, 4
	v_or3_b32 v4, v52, s0, 28
	.loc	1 21 47                         ; attention_fwd.py:21:47
	v_cmp_gt_i32_e32 vcc, s33, v4
	.loc	1 21 16 is_stmt 0               ; attention_fwd.py:21:16
	s_and_saveexec_b64 s[0:1], vcc
	s_cbranch_execz .LBB0_16
; %bb.15:
	.loc	1 20 35 is_stmt 1               ; attention_fwd.py:20:35
	v_mul_lo_u32 v4, s15, v4
	.loc	1 20 17 is_stmt 0               ; attention_fwd.py:20:17
	v_ashrrev_i32_e32 v5, 31, v4
	v_lshlrev_b64 v[4:5], 1, v[4:5]
	v_mov_b32_e32 v12, s7
	v_add_co_u32_e32 v4, vcc, s6, v4
	v_addc_co_u32_e32 v5, vcc, v12, v5, vcc
	.loc	1 20 47                         ; attention_fwd.py:20:47
	v_add_co_u32_e32 v4, vcc, v4, v2
	v_addc_co_u32_e32 v5, vcc, v5, v3, vcc
	.loc	1 21 16 is_stmt 1               ; attention_fwd.py:21:16
	global_load_ushort v12, v[4:5], off
.LBB0_16:
	.loc	1 0 16 is_stmt 0                ; attention_fwd.py:0:16
	s_or_b64 exec, exec, s[0:1]
	.loc	1 17 33 is_stmt 1               ; attention_fwd.py:17:33
	v_readlane_b32 s0, v213, 4
	v_or3_b32 v4, v52, s0, 32
	.loc	1 21 47                         ; attention_fwd.py:21:47
	v_cmp_gt_i32_e32 vcc, s33, v4
	v_mov_b32_e32 v14, 0
	v_mov_b32_e32 v15, 0
	.loc	1 21 16 is_stmt 0               ; attention_fwd.py:21:16
	s_and_saveexec_b64 s[0:1], vcc
	s_cbranch_execz .LBB0_18
; %bb.17:
	.loc	1 20 35 is_stmt 1               ; attention_fwd.py:20:35
	v_mul_lo_u32 v4, s15, v4
	.loc	1 20 17 is_stmt 0               ; attention_fwd.py:20:17
	v_ashrrev_i32_e32 v5, 31, v4
	v_lshlrev_b64 v[4:5], 1, v[4:5]
	v_mov_b32_e32 v15, s7
	v_add_co_u32_e32 v4, vcc, s6, v4
	v_addc_co_u32_e32 v5, vcc, v15, v5, vcc
	.loc	1 20 47                         ; attention_fwd.py:20:47
	v_add_co_u32_e32 v4, vcc, v4, v2
	v_addc_co_u32_e32 v5, vcc, v5, v3, vcc
	.loc	1 21 16 is_stmt 1               ; attention_fwd.py:21:16
	global_load_ushort v15, v[4:5], off
.LBB0_18:
	.loc	1 0 16 is_stmt 0                ; attention_fwd.py:0:16
	s_or_b64 exec, exec, s[0:1]
	.loc	1 17 33 is_stmt 1               ; attention_fwd.py:17:33
	v_readlane_b32 s0, v213, 4
	v_or3_b32 v4, v52, s0, 36
	.loc	1 21 47                         ; attention_fwd.py:21:47
	v_cmp_gt_i32_e32 vcc, s33, v4
	.loc	1 21 16 is_stmt 0               ; attention_fwd.py:21:16
	s_and_saveexec_b64 s[0:1], vcc
	s_cbranch_execz .LBB0_20
; %bb.19:
	.loc	1 20 35 is_stmt 1               ; attention_fwd.py:20:35
	v_mul_lo_u32 v4, s15, v4
	.loc	1 20 17 is_stmt 0               ; attention_fwd.py:20:17
	v_ashrrev_i32_e32 v5, 31, v4
	v_lshlrev_b64 v[4:5], 1, v[4:5]
	v_mov_b32_e32 v14, s7
	v_add_co_u32_e32 v4, vcc, s6, v4
	v_addc_co_u32_e32 v5, vcc, v14, v5, vcc
	.loc	1 20 47                         ; attention_fwd.py:20:47
	v_add_co_u32_e32 v4, vcc, v4, v2
	v_addc_co_u32_e32 v5, vcc, v5, v3, vcc
	.loc	1 21 16 is_stmt 1               ; attention_fwd.py:21:16
	global_load_ushort v14, v[4:5], off
.LBB0_20:
	.loc	1 0 16 is_stmt 0                ; attention_fwd.py:0:16
	s_or_b64 exec, exec, s[0:1]
	.loc	1 17 33 is_stmt 1               ; attention_fwd.py:17:33
	v_readlane_b32 s0, v213, 4
	v_or3_b32 v4, v52, s0, 40
	.loc	1 21 47                         ; attention_fwd.py:21:47
	v_cmp_gt_i32_e32 vcc, s33, v4
	v_mov_b32_e32 v16, 0
	v_mov_b32_e32 v17, 0
	.loc	1 21 16 is_stmt 0               ; attention_fwd.py:21:16
	s_and_saveexec_b64 s[0:1], vcc
	s_cbranch_execz .LBB0_22
; %bb.21:
	.loc	1 20 35 is_stmt 1               ; attention_fwd.py:20:35
	v_mul_lo_u32 v4, s15, v4
	.loc	1 20 17 is_stmt 0               ; attention_fwd.py:20:17
	v_ashrrev_i32_e32 v5, 31, v4
	v_lshlrev_b64 v[4:5], 1, v[4:5]
	v_mov_b32_e32 v17, s7
	v_add_co_u32_e32 v4, vcc, s6, v4
	v_addc_co_u32_e32 v5, vcc, v17, v5, vcc
	.loc	1 20 47                         ; attention_fwd.py:20:47
	v_add_co_u32_e32 v4, vcc, v4, v2
	v_addc_co_u32_e32 v5, vcc, v5, v3, vcc
	.loc	1 21 16 is_stmt 1               ; attention_fwd.py:21:16
	global_load_ushort v17, v[4:5], off
.LBB0_22:
	.loc	1 0 16 is_stmt 0                ; attention_fwd.py:0:16
	s_or_b64 exec, exec, s[0:1]
	.loc	1 17 33 is_stmt 1               ; attention_fwd.py:17:33
	v_readlane_b32 s0, v213, 4
	v_or3_b32 v4, v52, s0, 44
	.loc	1 21 47                         ; attention_fwd.py:21:47
	v_cmp_gt_i32_e32 vcc, s33, v4
	.loc	1 21 16 is_stmt 0               ; attention_fwd.py:21:16
	s_and_saveexec_b64 s[0:1], vcc
	s_cbranch_execz .LBB0_24
; %bb.23:
	.loc	1 20 35 is_stmt 1               ; attention_fwd.py:20:35
	v_mul_lo_u32 v4, s15, v4
	.loc	1 20 17 is_stmt 0               ; attention_fwd.py:20:17
	v_ashrrev_i32_e32 v5, 31, v4
	v_lshlrev_b64 v[4:5], 1, v[4:5]
	v_mov_b32_e32 v16, s7
	v_add_co_u32_e32 v4, vcc, s6, v4
	v_addc_co_u32_e32 v5, vcc, v16, v5, vcc
	.loc	1 20 47                         ; attention_fwd.py:20:47
	v_add_co_u32_e32 v4, vcc, v4, v2
	v_addc_co_u32_e32 v5, vcc, v5, v3, vcc
	.loc	1 21 16 is_stmt 1               ; attention_fwd.py:21:16
	global_load_ushort v16, v[4:5], off
.LBB0_24:
	.loc	1 0 16 is_stmt 0                ; attention_fwd.py:0:16
	s_or_b64 exec, exec, s[0:1]
	.loc	1 17 33 is_stmt 1               ; attention_fwd.py:17:33
	v_readlane_b32 s0, v213, 4
	v_or3_b32 v4, v52, s0, 48
	.loc	1 21 47                         ; attention_fwd.py:21:47
	v_cmp_gt_i32_e32 vcc, s33, v4
	v_mov_b32_e32 v21, 0
	v_mov_b32_e32 v22, 0
	.loc	1 21 16 is_stmt 0               ; attention_fwd.py:21:16
	s_and_saveexec_b64 s[0:1], vcc
	s_cbranch_execz .LBB0_26
; %bb.25:
	.loc	1 20 35 is_stmt 1               ; attention_fwd.py:20:35
	v_mul_lo_u32 v4, s15, v4
	.loc	1 20 17 is_stmt 0               ; attention_fwd.py:20:17
	v_ashrrev_i32_e32 v5, 31, v4
	v_lshlrev_b64 v[4:5], 1, v[4:5]
	v_mov_b32_e32 v18, s7
	v_add_co_u32_e32 v4, vcc, s6, v4
	v_addc_co_u32_e32 v5, vcc, v18, v5, vcc
	.loc	1 20 47                         ; attention_fwd.py:20:47
	v_add_co_u32_e32 v4, vcc, v4, v2
	v_addc_co_u32_e32 v5, vcc, v5, v3, vcc
	.loc	1 21 16 is_stmt 1               ; attention_fwd.py:21:16
	global_load_ushort v22, v[4:5], off
.LBB0_26:
	.loc	1 0 16 is_stmt 0                ; attention_fwd.py:0:16
	s_or_b64 exec, exec, s[0:1]
	.loc	1 17 33 is_stmt 1               ; attention_fwd.py:17:33
	v_readlane_b32 s0, v213, 4
	v_or3_b32 v4, v52, s0, 52
	.loc	1 21 47                         ; attention_fwd.py:21:47
	v_cmp_gt_i32_e32 vcc, s33, v4
	.loc	1 21 16 is_stmt 0               ; attention_fwd.py:21:16
	s_and_saveexec_b64 s[0:1], vcc
	s_cbranch_execz .LBB0_28
; %bb.27:
	.loc	1 20 35 is_stmt 1               ; attention_fwd.py:20:35
	v_mul_lo_u32 v4, s15, v4
	.loc	1 20 17 is_stmt 0               ; attention_fwd.py:20:17
	v_ashrrev_i32_e32 v5, 31, v4
	v_lshlrev_b64 v[4:5], 1, v[4:5]
	v_mov_b32_e32 v18, s7
	v_add_co_u32_e32 v4, vcc, s6, v4
	v_addc_co_u32_e32 v5, vcc, v18, v5, vcc
	.loc	1 20 47                         ; attention_fwd.py:20:47
	v_add_co_u32_e32 v4, vcc, v4, v2
	v_addc_co_u32_e32 v5, vcc, v5, v3, vcc
	.loc	1 21 16 is_stmt 1               ; attention_fwd.py:21:16
	global_load_ushort v21, v[4:5], off
.LBB0_28:
	.loc	1 0 16 is_stmt 0                ; attention_fwd.py:0:16
	s_or_b64 exec, exec, s[0:1]
	.loc	1 17 33 is_stmt 1               ; attention_fwd.py:17:33
	v_readlane_b32 s0, v213, 4
	v_or3_b32 v4, v52, s0, 56
	.loc	1 21 47                         ; attention_fwd.py:21:47
	v_cmp_gt_i32_e32 vcc, s33, v4
	v_mov_b32_e32 v23, 0
	v_mov_b32_e32 v24, 0
	.loc	1 21 16 is_stmt 0               ; attention_fwd.py:21:16
	s_and_saveexec_b64 s[0:1], vcc
	s_cbranch_execz .LBB0_30
; %bb.29:
	.loc	1 20 35 is_stmt 1               ; attention_fwd.py:20:35
	v_mul_lo_u32 v4, s15, v4
	.loc	1 20 17 is_stmt 0               ; attention_fwd.py:20:17
	v_ashrrev_i32_e32 v5, 31, v4
	v_lshlrev_b64 v[4:5], 1, v[4:5]
	v_mov_b32_e32 v18, s7
	v_add_co_u32_e32 v4, vcc, s6, v4
	v_addc_co_u32_e32 v5, vcc, v18, v5, vcc
	.loc	1 20 47                         ; attention_fwd.py:20:47
	v_add_co_u32_e32 v4, vcc, v4, v2
	v_addc_co_u32_e32 v5, vcc, v5, v3, vcc
	.loc	1 21 16 is_stmt 1               ; attention_fwd.py:21:16
	global_load_ushort v24, v[4:5], off
.LBB0_30:
	.loc	1 0 16 is_stmt 0                ; attention_fwd.py:0:16
	s_or_b64 exec, exec, s[0:1]
	.loc	1 17 33 is_stmt 1               ; attention_fwd.py:17:33
	v_readlane_b32 s0, v213, 4
	v_or3_b32 v5, v52, s0, 60
	v_and_b32_e32 v4, 0xc0, v0
	.loc	1 21 47                         ; attention_fwd.py:21:47
	v_cmp_gt_i32_e32 vcc, s33, v5
	.loc	1 21 16 is_stmt 0               ; attention_fwd.py:21:16
	s_and_saveexec_b64 s[0:1], vcc
	s_cbranch_execz .LBB0_32
; %bb.31:
	.loc	1 20 35 is_stmt 1               ; attention_fwd.py:20:35
	v_mul_lo_u32 v18, s15, v5
	.loc	1 20 17 is_stmt 0               ; attention_fwd.py:20:17
	v_ashrrev_i32_e32 v19, 31, v18
	v_lshlrev_b64 v[18:19], 1, v[18:19]
	v_mov_b32_e32 v5, s7
	v_add_co_u32_e32 v18, vcc, s6, v18
	v_addc_co_u32_e32 v5, vcc, v5, v19, vcc
	.loc	1 20 47                         ; attention_fwd.py:20:47
	v_add_co_u32_e32 v2, vcc, v18, v2
	v_addc_co_u32_e32 v3, vcc, v5, v3, vcc
	.loc	1 21 16 is_stmt 1               ; attention_fwd.py:21:16
	global_load_ushort v23, v[2:3], off
.LBB0_32:
	.loc	1 0 16 is_stmt 0                ; attention_fwd.py:0:16
	s_or_b64 exec, exec, s[0:1]
	.loc	1 21 16                         ; attention_fwd.py:21:16
	v_lshlrev_b32_e32 v18, 1, v0
	v_lshrrev_b32_e32 v2, 3, v4
	v_xor_b32_e32 v2, v18, v2
	v_add_u32_e32 v3, 0, v2
	s_waitcnt vmcnt(0)
	ds_write_b16 v3, v7
	ds_write_b16 v3, v11 offset:2048
	ds_write_b16 v3, v15 offset:4096
	;; [unrolled: 1-line block ×3, first 2 shown]
	v_xad_u32 v3, v2, 32, 0
	.loc	1 28 29 is_stmt 1               ; attention_fwd.py:28:29
	v_readlane_b32 s0, v213, 4
	.loc	1 17 46                         ; attention_fwd.py:17:46
	v_and_b32_e32 v53, 31, v0
	v_and_b32_e32 v19, 64, v0
	.loc	1 21 16                         ; attention_fwd.py:21:16
	ds_write_b16 v3, v6 offset:512
	ds_write_b16 v3, v10 offset:2560
	;; [unrolled: 1-line block ×4, first 2 shown]
	v_xad_u32 v3, v2, 64, 0
	v_xor_b32_e32 v2, 0x60, v2
	.loc	1 28 29                         ; attention_fwd.py:28:29
	s_add_i32 s0, s0, 64
	.loc	1 17 46                         ; attention_fwd.py:17:46
	v_and_b32_e32 v20, 32, v0
	.loc	1 21 16                         ; attention_fwd.py:21:16
	v_add_u32_e32 v2, 0, v2
	.loc	1 31 32                         ; attention_fwd.py:31:32
	s_cmp_gt_i32 s0, 0
	v_lshlrev_b32_e32 v55, 2, v53
	v_lshlrev_b32_e32 v56, 1, v19
	.loc	1 21 16                         ; attention_fwd.py:21:16
	ds_write_b16 v3, v9 offset:1024
	ds_write_b16 v3, v13 offset:3072
	;; [unrolled: 1-line block ×8, first 2 shown]
	s_waitcnt lgkmcnt(0)
	s_barrier
	v_writelane_b32 v213, s0, 5
	.loc	1 31 32                         ; attention_fwd.py:31:32
	s_cbranch_scc1 .LBB0_34
; %bb.33:                               ; %.._crit_edge_crit_edge
	.loc	1 0 32 is_stmt 0                ; attention_fwd.py:0:32
	s_mov_b64 s[0:1], 0
	s_branch .LBB0_35
.LBB0_34:
	s_mov_b64 s[0:1], -1
.LBB0_35:                               ; %Flow
	v_lshrrev_b32_e32 v57, 3, v20
	v_lshrrev_b32_e32 v58, 1, v19
	v_and_b32_e32 v54, 0x80, v0
	v_mov_b32_e32 v21, 0
	s_andn2_b64 vcc, exec, s[0:1]
	v_mov_b32_e32 v17, 0
	v_mov_b32_e32 v16, 0
	;; [unrolled: 1-line block ×16, first 2 shown]
	s_cbranch_vccnz .LBB0_102
; %bb.36:                               ; %.lr.ph
	v_readlane_b32 s4, v213, 2
	.loc	1 21 16 is_stmt 1               ; attention_fwd.py:21:16
	v_lshlrev_b32_e32 v3, 3, v0
	v_readlane_b32 s5, v213, 3
	v_and_b32_e32 v3, 0x78, v3
	v_lshrrev_b32_e32 v4, 2, v20
	s_load_dwordx4 s[0:3], s[4:5], 0x2c
	v_lshlrev_b32_e32 v2, 7, v53
	v_lshlrev_b32_e32 v6, 6, v19
	v_xor_b32_e32 v3, v3, v4
	v_or3_b32 v2, v3, v2, v6
	v_add_u32_e32 v3, 0, v2
	v_xad_u32 v4, v2, 16, 0
	v_xad_u32 v5, v2, 32, 0
	;; [unrolled: 1-line block ×3, first 2 shown]
	ds_read_b64 v[136:137], v3
	ds_read_b64 v[138:139], v4
	;; [unrolled: 1-line block ×4, first 2 shown]
	v_xor_b32_e32 v4, 0x50, v2
	v_xad_u32 v3, v2, 64, 0
	v_add_u32_e32 v4, 0, v4
	v_xor_b32_e32 v5, 0x60, v2
	v_xor_b32_e32 v2, 0x70, v2
	v_add_u32_e32 v5, 0, v5
	v_add_u32_e32 v2, 0, v2
	ds_read_b64 v[144:145], v3
	ds_read_b64 v[146:147], v4
	;; [unrolled: 1-line block ×4, first 2 shown]
	.loc	1 33 69                         ; attention_fwd.py:33:69
	s_waitcnt lgkmcnt(0)
	v_mul_lo_u32 v4, s1, v1
	v_ashrrev_i32_e32 v5, 31, v4
	.loc	1 31 32                         ; attention_fwd.py:31:32
	v_lshlrev_b64 v[4:5], 1, v[4:5]
	.loc	1 44 69                         ; attention_fwd.py:44:69
	v_mul_lo_u32 v2, s3, v1
	.loc	1 31 32                         ; attention_fwd.py:31:32
	v_mov_b32_e32 v1, s9
	v_add_co_u32_e32 v50, vcc, s8, v4
	v_addc_co_u32_e32 v1, vcc, v1, v5, vcc
	v_and_b32_e32 v3, 56, v0
	v_lshlrev_b32_e32 v5, 4, v0
	v_mov_b32_e32 v7, 0x84
	.loc	1 17 46                         ; attention_fwd.py:17:46
	v_cmp_eq_u32_e32 vcc, 0, v54
	v_and_b32_e32 v4, 1, v0
	v_and_b32_e32 v5, 64, v5
	v_cndmask_b32_e64 v7, v7, 0, vcc
	v_and_or_b32 v3, v18, 4, v3
	v_lshl_or_b32 v5, v4, 11, v5
	v_xor_b32_e32 v3, v3, v7
	v_or3_b32 v5, v3, v5, v6
	v_lshlrev_b32_e32 v3, 6, v0
	v_and_b32_e32 v3, 0x780, v3
	v_and_b32_e32 v13, 0x7c, v18
	v_lshlrev_b32_e32 v4, 12, v4
	v_or3_b32 v4, v3, v13, v4
	v_ashrrev_i32_e32 v3, 31, v2
	v_lshlrev_b32_e32 v0, 2, v0
	.loc	1 31 32                         ; attention_fwd.py:31:32
	v_lshlrev_b64 v[2:3], 1, v[2:3]
	v_xor_b32_e32 v59, 0x80, v0
	v_mov_b32_e32 v17, s11
	v_add_co_u32_e32 v0, vcc, s10, v2
	v_addc_co_u32_e32 v51, vcc, v17, v3, vcc
	v_lshl_add_u32 v3, v20, 4, 0
	v_add_u32_e32 v17, v3, v19
	v_lshrrev_b32_e32 v19, 1, v54
	v_add_u32_e32 v3, v3, v19
	v_or_b32_e32 v19, 60, v52
	v_mul_lo_u32 v60, s2, v19
	v_mul_lo_u32 v61, s0, v19
	v_or_b32_e32 v19, 56, v52
	v_mul_lo_u32 v62, s2, v19
	v_mul_lo_u32 v63, s0, v19
	;; [unrolled: 3-line block ×8, first 2 shown]
	v_or_b32_e32 v19, 28, v52
	.loc	1 21 16                         ; attention_fwd.py:21:16
	s_mov_b32 s4, 0
	.loc	1 31 32                         ; attention_fwd.py:31:32
	v_mul_lo_u32 v76, s2, v19
	v_mul_lo_u32 v77, s0, v19
	v_or_b32_e32 v19, 24, v52
	.loc	1 21 16                         ; attention_fwd.py:21:16
	v_writelane_b32 v213, s4, 6
	.loc	1 31 32                         ; attention_fwd.py:31:32
	s_lshl_b32 s1, s2, 6
	v_mul_lo_u32 v78, s2, v19
	v_mul_lo_u32 v79, s0, v19
	v_or_b32_e32 v19, 20, v52
	v_writelane_b32 v213, s1, 7
	s_lshl_b32 s1, s0, 6
	v_mul_lo_u32 v80, s2, v19
	v_mul_lo_u32 v81, s0, v19
	v_or_b32_e32 v19, 16, v52
	v_lshlrev_b32_e32 v2, 1, v53
	v_writelane_b32 v213, s1, 8
	v_mul_lo_u32 v82, s2, v19
	v_mul_lo_u32 v83, s0, v19
	v_or_b32_e32 v19, 12, v52
	s_mov_b32 s1, 0
	v_xor_b32_e32 v6, 8, v5
	v_xor_b32_e32 v7, 16, v5
	;; [unrolled: 1-line block ×8, first 2 shown]
	v_mul_lo_u32 v84, s2, v19
	v_mul_lo_u32 v85, s0, v19
	v_or_b32_e32 v19, 8, v52
	v_add_u32_e32 v88, v17, v2
	v_add_u32_e32 v89, v3, v2
	v_add_u32_e32 v92, 0, v5
	v_xor_b32_e32 v2, 20, v4
	v_xor_b32_e32 v3, 24, v4
	;; [unrolled: 1-line block ×3, first 2 shown]
	v_writelane_b32 v213, s1, 9
	v_xor_b32_e32 v13, 4, v4
	v_xor_b32_e32 v14, 8, v4
	v_xor_b32_e32 v15, 12, v4
	v_mul_lo_u32 v86, s2, v19
	v_mul_lo_u32 v87, s0, v19
	v_or_b32_e32 v19, 4, v52
	v_add_u32_e32 v93, 0, v6
	v_add_u32_e32 v94, 0, v7
	;; [unrolled: 1-line block ×7, first 2 shown]
	v_xor_b32_e32 v6, 32, v4
	v_xor_b32_e32 v7, 36, v4
	;; [unrolled: 1-line block ×8, first 2 shown]
	v_add_u32_e32 v100, 0, v4
	v_add_u32_e32 v104, 0, v16
	;; [unrolled: 1-line block ×5, first 2 shown]
	v_or_b32_e32 v2, 0x600, v18
	v_or_b32_e32 v3, 0xe00, v18
	v_or_b32_e32 v4, 0x1600, v18
	v_or_b32_e32 v5, 0x1e00, v18
	v_mov_b32_e32 v16, 0
	.loc	1 17 33                         ; attention_fwd.py:17:33
	v_readlane_b32 s1, v213, 4
	v_mov_b32_e32 v125, 0
	.loc	1 31 32                         ; attention_fwd.py:31:32
	v_mul_lo_u32 v90, s2, v19
	v_mul_lo_u32 v91, s0, v19
	s_mov_b32 s15, 0x5040100
	v_add_u32_e32 v101, 0, v13
	v_add_u32_e32 v102, 0, v14
	v_add_u32_e32 v103, 0, v15
	v_add_u32_e32 v108, 0, v6
	v_add_u32_e32 v109, 0, v7
	v_add_u32_e32 v110, 0, v8
	v_add_u32_e32 v111, 0, v9
	v_add_u32_e32 v112, 0, v10
	v_add_u32_e32 v113, 0, v11
	v_add_u32_e32 v114, 0, v12
	v_add_u32_e32 v115, 0, v17
	v_add_u32_e32 v116, 0, v18
	v_add_u32_e32 v117, 0, v2
	v_add_u32_e32 v118, 0, v3
	v_add_u32_e32 v119, 0, v4
	v_add_u32_e32 v120, 0, v5
	v_mov_b32_e32 v17, v16
	v_mov_b32_e32 v14, v16
	v_mov_b32_e32 v15, v16
	v_mov_b32_e32 v12, v16
	v_mov_b32_e32 v13, v16
	v_mov_b32_e32 v10, v16
	v_mov_b32_e32 v11, v16
	v_mov_b32_e32 v8, v16
	v_mov_b32_e32 v9, v16
	v_mov_b32_e32 v6, v16
	v_mov_b32_e32 v7, v16
	v_mov_b32_e32 v4, v16
	v_mov_b32_e32 v5, v16
	v_mov_b32_e32 v2, v16
	v_mov_b32_e32 v3, v16
	.loc	1 17 33                         ; attention_fwd.py:17:33
	v_or3_b32 v121, s1, v53, v58
	v_add_u32_e32 v122, 0, v55
	.loc	1 31 32                         ; attention_fwd.py:31:32
	v_mul_lo_u32 v123, s2, v52
	v_mul_lo_u32 v124, s0, v52
	v_mov_b32_e32 v131, 0xff800000
	v_mov_b32_e32 v126, 0xff800000
	;; [unrolled: 1-line block ×3, first 2 shown]
	v_not_b32_e32 v128, 63
	v_mov_b32_e32 v129, 0x7fff
	v_mov_b32_e32 v130, v125
	s_branch .LBB0_38
.LBB0_37:                               ;   in Loop: Header=BB0_38 Depth=1
	.loc	1 0 32 is_stmt 0                ; attention_fwd.py:0:32
	s_or_b64 exec, exec, s[0:1]
	.loc	1 46 27 is_stmt 1               ; attention_fwd.py:46:27
	v_bfe_u32 v168, v23, 16, 1
	s_movk_i32 s0, 0x7fff
	v_add3_u32 v168, v23, v168, s0
	v_cmp_o_f32_e32 vcc, v23, v23
	v_cndmask_b32_sdwa v23, v129, v168, vcc dst_sel:DWORD dst_unused:UNUSED_PAD src0_sel:DWORD src1_sel:WORD_1
	v_bfe_u32 v168, v25, 16, 1
	v_add3_u32 v168, v25, v168, s0
	v_lshrrev_b32_e32 v168, 16, v168
	v_cmp_o_f32_e32 vcc, v25, v25
	v_cndmask_b32_e32 v25, v129, v168, vcc
	v_bfe_u32 v168, v24, 16, 1
	v_add3_u32 v168, v24, v168, s0
	v_lshrrev_b32_e32 v168, 16, v168
	v_cmp_o_f32_e32 vcc, v24, v24
	v_cndmask_b32_e32 v24, v129, v168, vcc
	;; [unrolled: 5-line block ×31, first 2 shown]
	s_waitcnt lgkmcnt(0)
	s_barrier
	ds_write_b16 v88, v23
	ds_write_b16 v88, v25 offset:128
	ds_write_b16 v88, v24 offset:256
	;; [unrolled: 1-line block ×31, first 2 shown]
	s_waitcnt lgkmcnt(0)
	s_barrier
	ds_read_u16 v23, v89
	ds_read_u16 v24, v89 offset:128
	ds_read_u16 v25, v89 offset:256
	;; [unrolled: 1-line block ×31, first 2 shown]
	.loc	1 45 20                         ; attention_fwd.py:45:20
	s_waitcnt lgkmcnt(0)
	s_barrier
	s_waitcnt vmcnt(0)
	ds_write_b16 v116, v152
	ds_write_b16 v116, v154 offset:512
	ds_write_b16 v116, v153 offset:1024
	ds_write_b16 v117, v156
	ds_write_b16 v116, v155 offset:2048
	ds_write_b16 v116, v158 offset:2560
	ds_write_b16 v116, v157 offset:3072
	ds_write_b16 v118, v160
	ds_write_b16 v116, v159 offset:4096
	;; [unrolled: 4-line block ×3, first 2 shown]
	ds_write_b16 v116, v166 offset:6656
	ds_write_b16 v116, v165 offset:7168
	ds_write_b16 v120, v167
	s_waitcnt lgkmcnt(0)
	s_barrier
	ds_read_u16 v152, v88
	ds_read_u16 v153, v88 offset:128
	ds_read_u16 v27, v88 offset:256
	;; [unrolled: 1-line block ×7, first 2 shown]
	.loc	1 46 37                         ; attention_fwd.py:46:37
	v_perm_b32 v25, v26, v25, s15
	s_waitcnt lgkmcnt(4)
	v_perm_b32 v27, v154, v27, s15
	v_perm_b32 v26, v153, v152, s15
	;; [unrolled: 1-line block ×3, first 2 shown]
	v_pk_mul_f32 v[16:17], v[16:17], v[18:19] op_sel_hi:[1,0]
	v_pk_mul_f32 v[14:15], v[14:15], v[18:19] op_sel_hi:[1,0]
	;; [unrolled: 1-line block ×8, first 2 shown]
.Ltmp2:
	.file	2 "/root/.local/lib/python3.13/site-packages/triton/language" "standard.py"
	.loc	2 263 15                        ; standard.py:263:15 @[ standard.py:293:36 @[ attention_fwd.py:42:38 ] ]
	v_add_f32_e32 v21, v21, v22
.Ltmp3:
	.loc	1 46 37                         ; attention_fwd.py:46:37
	v_perm_b32 v22, v134, v133, s15
	v_mfma_f32_32x32x8bf16_1k v[2:17], v[26:27], v[24:25], v[2:17]
	s_waitcnt lgkmcnt(0)
	v_perm_b32 v25, v158, v157, s15
	v_perm_b32 v24, v156, v155, s15
	;; [unrolled: 1-line block ×4, first 2 shown]
	.loc	1 31 32                         ; attention_fwd.py:31:32
	v_readlane_b32 s0, v213, 7
	v_readlane_b32 s1, v213, 9
	s_add_i32 s1, s1, s0
	v_writelane_b32 v213, s1, 9
	v_readlane_b32 s0, v213, 6
	v_readlane_b32 s1, v213, 8
	s_add_i32 s0, s0, s1
	v_writelane_b32 v213, s0, 6
	.loc	1 42 28                         ; attention_fwd.py:42:28
	v_fmac_f32_e32 v21, v130, v20
	.loc	1 31 32                         ; attention_fwd.py:31:32
	s_add_i32 s4, s4, 64
	v_readlane_b32 s0, v213, 5
	.loc	1 46 37                         ; attention_fwd.py:46:37
	v_mfma_f32_32x32x8bf16_1k v[2:17], v[24:25], v[26:27], v[2:17]
	.loc	1 45 20                         ; attention_fwd.py:45:20
	ds_read_u16 v18, v88 offset:2048
	ds_read_u16 v23, v88 offset:2176
	;; [unrolled: 1-line block ×8, first 2 shown]
	.loc	1 46 37                         ; attention_fwd.py:46:37
	s_waitcnt lgkmcnt(4)
	v_perm_b32 v25, v25, v24, s15
	v_perm_b32 v24, v23, v18, s15
	;; [unrolled: 1-line block ×4, first 2 shown]
	.loc	1 31 32                         ; attention_fwd.py:31:32
	s_cmp_lt_i32 s4, s0
	v_mov_b32_e32 v130, v21
	.loc	1 46 37                         ; attention_fwd.py:46:37
	v_mfma_f32_32x32x8bf16_1k v[2:17], v[24:25], v[26:27], v[2:17]
	s_waitcnt lgkmcnt(0)
	v_perm_b32 v25, v31, v30, s15
	v_perm_b32 v24, v29, v28, s15
	v_perm_b32 v27, v39, v38, s15
	v_perm_b32 v26, v37, v36, s15
	s_nop 1
	v_mfma_f32_32x32x8bf16_1k v[2:17], v[24:25], v[26:27], v[2:17]
	.loc	1 45 20                         ; attention_fwd.py:45:20
	ds_read_u16 v18, v88 offset:4096
	ds_read_u16 v23, v88 offset:4224
	;; [unrolled: 1-line block ×8, first 2 shown]
	.loc	1 46 37                         ; attention_fwd.py:46:37
	s_waitcnt lgkmcnt(4)
	v_perm_b32 v25, v25, v24, s15
	v_perm_b32 v24, v23, v18, s15
	v_perm_b32 v27, v43, v42, s15
	v_perm_b32 v26, v41, v40, s15
	s_nop 1
	v_mfma_f32_32x32x8bf16_1k v[2:17], v[24:25], v[26:27], v[2:17]
	s_waitcnt lgkmcnt(0)
	v_perm_b32 v25, v31, v30, s15
	v_perm_b32 v24, v29, v28, s15
	v_perm_b32 v27, v47, v46, s15
	v_perm_b32 v26, v45, v44, s15
	s_nop 1
	v_mfma_f32_32x32x8bf16_1k v[2:17], v[24:25], v[26:27], v[2:17]
	.loc	1 45 20                         ; attention_fwd.py:45:20
	ds_read_u16 v18, v88 offset:6144
	ds_read_u16 v23, v88 offset:6272
	;; [unrolled: 1-line block ×8, first 2 shown]
	.loc	1 46 37                         ; attention_fwd.py:46:37
	s_waitcnt lgkmcnt(4)
	v_perm_b32 v25, v25, v24, s15
	v_perm_b32 v24, v23, v18, s15
	v_perm_b32 v27, v132, v131, s15
	v_perm_b32 v26, v49, v48, s15
	v_perm_b32 v23, v168, v135, s15
	v_mov_b32_e32 v131, v19
	v_mfma_f32_32x32x8bf16_1k v[2:17], v[24:25], v[26:27], v[2:17]
	s_waitcnt lgkmcnt(0)
	v_perm_b32 v25, v31, v30, s15
	v_perm_b32 v24, v29, v28, s15
	s_nop 1
	v_mfma_f32_32x32x8bf16_1k v[2:17], v[24:25], v[22:23], v[2:17]
	.loc	1 31 32                         ; attention_fwd.py:31:32
	s_cbranch_scc0 .LBB0_102
.LBB0_38:                               ; =>This Inner Loop Header: Depth=1
	.loc	1 32 27                         ; attention_fwd.py:32:27
	v_add_u32_e32 v21, s4, v52
	v_mov_b32_e32 v18, v125
	.loc	1 34 51                         ; attention_fwd.py:34:51
	v_cmp_gt_i32_e64 s[0:1], s33, v21
	.loc	1 34 20 is_stmt 0               ; attention_fwd.py:34:20
	s_mov_b64 s[2:3], exec
	v_writelane_b32 v213, s0, 10
	v_writelane_b32 v213, s1, 11
	s_and_b64 s[0:1], s[2:3], s[0:1]
	s_mov_b64 exec, s[0:1]
	s_cbranch_execz .LBB0_40
; %bb.39:                               ;   in Loop: Header=BB0_38 Depth=1
	.loc	1 0 20                          ; attention_fwd.py:0:20
	v_readlane_b32 s0, v213, 6
	v_add_u32_e32 v18, s0, v124
	v_ashrrev_i32_e32 v19, 31, v18
	v_lshlrev_b64 v[18:19], 1, v[18:19]
	v_add_co_u32_e64 v18, s[0:1], v50, v18
	v_addc_co_u32_e64 v19, s[0:1], v1, v19, s[0:1]
	.loc	1 34 20                         ; attention_fwd.py:34:20
	global_load_ushort v18, v[18:19], off
.LBB0_40:                               ;   in Loop: Header=BB0_38 Depth=1
	.loc	1 0 20                          ; attention_fwd.py:0:20
	s_or_b64 exec, exec, s[2:3]
	.loc	1 32 27 is_stmt 1               ; attention_fwd.py:32:27
	v_add_u32_e32 v19, 4, v21
	.loc	1 34 51                         ; attention_fwd.py:34:51
	v_cmp_gt_i32_e64 s[2:3], s33, v19
	.loc	1 34 20 is_stmt 0               ; attention_fwd.py:34:20
	v_mov_b32_e32 v19, 0
	v_mov_b32_e32 v20, v19
	s_mov_b64 s[0:1], exec
	v_writelane_b32 v213, s2, 12
	v_writelane_b32 v213, s3, 13
	s_and_b64 s[2:3], s[0:1], s[2:3]
	s_mov_b64 exec, s[2:3]
	s_cbranch_execz .LBB0_42
; %bb.41:                               ;   in Loop: Header=BB0_38 Depth=1
	.loc	1 33 39 is_stmt 1               ; attention_fwd.py:33:39
	v_readlane_b32 s2, v213, 6
	v_add_u32_e32 v22, s2, v91
	.loc	1 33 21 is_stmt 0               ; attention_fwd.py:33:21
	v_ashrrev_i32_e32 v23, 31, v22
	.loc	1 33 51                         ; attention_fwd.py:33:51
	v_lshlrev_b64 v[22:23], 1, v[22:23]
	v_add_co_u32_e64 v22, s[2:3], v50, v22
	v_addc_co_u32_e64 v23, s[2:3], v1, v23, s[2:3]
	.loc	1 34 20 is_stmt 1               ; attention_fwd.py:34:20
	global_load_ushort v20, v[22:23], off
.LBB0_42:                               ;   in Loop: Header=BB0_38 Depth=1
	.loc	1 0 20 is_stmt 0                ; attention_fwd.py:0:20
	s_or_b64 exec, exec, s[0:1]
	.loc	1 32 27 is_stmt 1               ; attention_fwd.py:32:27
	v_add_u32_e32 v22, 8, v21
	.loc	1 34 51                         ; attention_fwd.py:34:51
	v_cmp_gt_i32_e64 s[2:3], s33, v22
	.loc	1 34 20 is_stmt 0               ; attention_fwd.py:34:20
	s_mov_b64 s[0:1], exec
	v_writelane_b32 v213, s2, 14
	v_writelane_b32 v213, s3, 15
	s_and_b64 s[2:3], s[0:1], s[2:3]
	s_mov_b64 exec, s[2:3]
	s_cbranch_execz .LBB0_44
; %bb.43:                               ;   in Loop: Header=BB0_38 Depth=1
	.loc	1 33 39 is_stmt 1               ; attention_fwd.py:33:39
	v_readlane_b32 s2, v213, 6
	v_add_u32_e32 v22, s2, v87
	.loc	1 33 21 is_stmt 0               ; attention_fwd.py:33:21
	v_ashrrev_i32_e32 v23, 31, v22
	.loc	1 33 51                         ; attention_fwd.py:33:51
	v_lshlrev_b64 v[22:23], 1, v[22:23]
	v_add_co_u32_e64 v22, s[6:7], v50, v22
	v_addc_co_u32_e64 v23, s[6:7], v1, v23, s[6:7]
	.loc	1 34 20 is_stmt 1               ; attention_fwd.py:34:20
	global_load_ushort v19, v[22:23], off
.LBB0_44:                               ;   in Loop: Header=BB0_38 Depth=1
	.loc	1 0 20 is_stmt 0                ; attention_fwd.py:0:20
	s_or_b64 exec, exec, s[0:1]
	.loc	1 32 27 is_stmt 1               ; attention_fwd.py:32:27
	v_add_u32_e32 v22, 12, v21
	.loc	1 34 51                         ; attention_fwd.py:34:51
	v_cmp_gt_i32_e64 s[2:3], s33, v22
	.loc	1 34 20 is_stmt 0               ; attention_fwd.py:34:20
	v_mov_b32_e32 v22, 0
	v_mov_b32_e32 v23, v22
	s_mov_b64 s[0:1], exec
	v_writelane_b32 v213, s2, 16
	v_writelane_b32 v213, s3, 17
	s_and_b64 s[2:3], s[0:1], s[2:3]
	s_mov_b64 exec, s[2:3]
	s_cbranch_execz .LBB0_46
; %bb.45:                               ;   in Loop: Header=BB0_38 Depth=1
	.loc	1 33 39 is_stmt 1               ; attention_fwd.py:33:39
	v_readlane_b32 s2, v213, 6
	v_add_u32_e32 v24, s2, v85
	.loc	1 33 21 is_stmt 0               ; attention_fwd.py:33:21
	v_ashrrev_i32_e32 v25, 31, v24
	.loc	1 33 51                         ; attention_fwd.py:33:51
	v_lshlrev_b64 v[24:25], 1, v[24:25]
	v_add_co_u32_e64 v24, s[8:9], v50, v24
	v_addc_co_u32_e64 v25, s[8:9], v1, v25, s[8:9]
	.loc	1 34 20 is_stmt 1               ; attention_fwd.py:34:20
	global_load_ushort v23, v[24:25], off
.LBB0_46:                               ;   in Loop: Header=BB0_38 Depth=1
	.loc	1 0 20 is_stmt 0                ; attention_fwd.py:0:20
	s_or_b64 exec, exec, s[0:1]
	.loc	1 32 27 is_stmt 1               ; attention_fwd.py:32:27
	v_add_u32_e32 v24, 16, v21
	.loc	1 34 51                         ; attention_fwd.py:34:51
	v_cmp_gt_i32_e64 s[2:3], s33, v24
	.loc	1 34 20 is_stmt 0               ; attention_fwd.py:34:20
	s_mov_b64 s[0:1], exec
	v_writelane_b32 v213, s2, 18
	v_writelane_b32 v213, s3, 19
	s_and_b64 s[2:3], s[0:1], s[2:3]
	s_mov_b64 exec, s[2:3]
	s_cbranch_execz .LBB0_48
; %bb.47:                               ;   in Loop: Header=BB0_38 Depth=1
	.loc	1 33 39 is_stmt 1               ; attention_fwd.py:33:39
	v_readlane_b32 s2, v213, 6
	v_add_u32_e32 v24, s2, v83
	.loc	1 33 21 is_stmt 0               ; attention_fwd.py:33:21
	v_ashrrev_i32_e32 v25, 31, v24
	.loc	1 33 51                         ; attention_fwd.py:33:51
	v_lshlrev_b64 v[24:25], 1, v[24:25]
	v_add_co_u32_e64 v24, s[10:11], v50, v24
	v_addc_co_u32_e64 v25, s[10:11], v1, v25, s[10:11]
	.loc	1 34 20 is_stmt 1               ; attention_fwd.py:34:20
	global_load_ushort v22, v[24:25], off
.LBB0_48:                               ;   in Loop: Header=BB0_38 Depth=1
	.loc	1 0 20 is_stmt 0                ; attention_fwd.py:0:20
	;; [unrolled: 54-line block ×3, first 2 shown]
	s_or_b64 exec, exec, s[0:1]
	.loc	1 32 27 is_stmt 1               ; attention_fwd.py:32:27
	v_add_u32_e32 v26, 28, v21
	.loc	1 34 51                         ; attention_fwd.py:34:51
	v_cmp_gt_i32_e64 s[2:3], s33, v26
	v_mov_b32_e32 v26, 0
	.loc	1 34 20 is_stmt 0               ; attention_fwd.py:34:20
	s_mov_b64 s[0:1], exec
	v_writelane_b32 v213, s2, 24
	v_writelane_b32 v213, s3, 25
	s_and_b64 s[2:3], s[0:1], s[2:3]
	s_mov_b64 exec, s[2:3]
	s_cbranch_execz .LBB0_54
; %bb.53:                               ;   in Loop: Header=BB0_38 Depth=1
	.loc	1 33 39 is_stmt 1               ; attention_fwd.py:33:39
	v_readlane_b32 s2, v213, 6
	v_add_u32_e32 v26, s2, v77
	.loc	1 33 21 is_stmt 0               ; attention_fwd.py:33:21
	v_ashrrev_i32_e32 v27, 31, v26
	.loc	1 33 51                         ; attention_fwd.py:33:51
	v_lshlrev_b64 v[26:27], 1, v[26:27]
	v_add_co_u32_e64 v26, s[18:19], v50, v26
	v_addc_co_u32_e64 v27, s[18:19], v1, v27, s[18:19]
	.loc	1 35 32 is_stmt 1               ; attention_fwd.py:35:32
	global_load_ushort v26, v[26:27], off
.LBB0_54:                               ;   in Loop: Header=BB0_38 Depth=1
	.loc	1 0 32 is_stmt 0                ; attention_fwd.py:0:32
	s_or_b64 exec, exec, s[0:1]
	.loc	1 32 27 is_stmt 1               ; attention_fwd.py:32:27
	v_add_u32_e32 v27, 32, v21
	.loc	1 34 51                         ; attention_fwd.py:34:51
	v_cmp_gt_i32_e64 s[2:3], s33, v27
	.loc	1 34 20 is_stmt 0               ; attention_fwd.py:34:20
	v_mov_b32_e32 v27, 0
	v_mov_b32_e32 v28, v27
	s_mov_b64 s[0:1], exec
	v_writelane_b32 v213, s2, 26
	v_writelane_b32 v213, s3, 27
	s_and_b64 s[2:3], s[0:1], s[2:3]
	s_mov_b64 exec, s[2:3]
	s_cbranch_execz .LBB0_56
; %bb.55:                               ;   in Loop: Header=BB0_38 Depth=1
	.loc	1 33 39 is_stmt 1               ; attention_fwd.py:33:39
	v_readlane_b32 s2, v213, 6
	v_add_u32_e32 v28, s2, v75
	.loc	1 33 21 is_stmt 0               ; attention_fwd.py:33:21
	v_ashrrev_i32_e32 v29, 31, v28
	.loc	1 33 51                         ; attention_fwd.py:33:51
	v_lshlrev_b64 v[28:29], 1, v[28:29]
	v_add_co_u32_e64 v28, s[20:21], v50, v28
	v_addc_co_u32_e64 v29, s[20:21], v1, v29, s[20:21]
	.loc	1 34 20 is_stmt 1               ; attention_fwd.py:34:20
	global_load_ushort v28, v[28:29], off
.LBB0_56:                               ;   in Loop: Header=BB0_38 Depth=1
	.loc	1 0 20 is_stmt 0                ; attention_fwd.py:0:20
	s_or_b64 exec, exec, s[0:1]
	.loc	1 32 27 is_stmt 1               ; attention_fwd.py:32:27
	v_add_u32_e32 v29, 36, v21
	.loc	1 34 51                         ; attention_fwd.py:34:51
	v_cmp_gt_i32_e64 s[20:21], s33, v29
	.loc	1 34 20 is_stmt 0               ; attention_fwd.py:34:20
	s_and_saveexec_b64 s[0:1], s[20:21]
	s_cbranch_execz .LBB0_58
; %bb.57:                               ;   in Loop: Header=BB0_38 Depth=1
	.loc	1 33 39 is_stmt 1               ; attention_fwd.py:33:39
	v_readlane_b32 s2, v213, 6
	v_add_u32_e32 v30, s2, v73
	.loc	1 33 21 is_stmt 0               ; attention_fwd.py:33:21
	v_ashrrev_i32_e32 v31, 31, v30
	.loc	1 33 51                         ; attention_fwd.py:33:51
	v_lshlrev_b64 v[30:31], 1, v[30:31]
	v_add_co_u32_e64 v30, s[22:23], v50, v30
	v_addc_co_u32_e64 v31, s[22:23], v1, v31, s[22:23]
	.loc	1 34 20 is_stmt 1               ; attention_fwd.py:34:20
	global_load_ushort v27, v[30:31], off
.LBB0_58:                               ;   in Loop: Header=BB0_38 Depth=1
	.loc	1 0 20 is_stmt 0                ; attention_fwd.py:0:20
	s_or_b64 exec, exec, s[0:1]
	.loc	1 32 27 is_stmt 1               ; attention_fwd.py:32:27
	v_add_u32_e32 v29, 40, v21
	.loc	1 34 51                         ; attention_fwd.py:34:51
	v_cmp_gt_i32_e64 s[22:23], s33, v29
	.loc	1 34 20 is_stmt 0               ; attention_fwd.py:34:20
	v_mov_b32_e32 v29, 0
	v_mov_b32_e32 v30, v29
	s_and_saveexec_b64 s[0:1], s[22:23]
	s_cbranch_execz .LBB0_60
; %bb.59:                               ;   in Loop: Header=BB0_38 Depth=1
	.loc	1 33 39 is_stmt 1               ; attention_fwd.py:33:39
	v_readlane_b32 s2, v213, 6
	v_add_u32_e32 v30, s2, v71
	.loc	1 33 21 is_stmt 0               ; attention_fwd.py:33:21
	v_ashrrev_i32_e32 v31, 31, v30
	.loc	1 33 51                         ; attention_fwd.py:33:51
	v_lshlrev_b64 v[30:31], 1, v[30:31]
	v_add_co_u32_e64 v30, s[24:25], v50, v30
	v_addc_co_u32_e64 v31, s[24:25], v1, v31, s[24:25]
	.loc	1 34 20 is_stmt 1               ; attention_fwd.py:34:20
	global_load_ushort v30, v[30:31], off
.LBB0_60:                               ;   in Loop: Header=BB0_38 Depth=1
	.loc	1 0 20 is_stmt 0                ; attention_fwd.py:0:20
	s_or_b64 exec, exec, s[0:1]
	.loc	1 32 27 is_stmt 1               ; attention_fwd.py:32:27
	v_add_u32_e32 v31, 44, v21
	.loc	1 34 51                         ; attention_fwd.py:34:51
	v_cmp_gt_i32_e64 s[24:25], s33, v31
	.loc	1 34 20 is_stmt 0               ; attention_fwd.py:34:20
	s_and_saveexec_b64 s[0:1], s[24:25]
	s_cbranch_execz .LBB0_62
; %bb.61:                               ;   in Loop: Header=BB0_38 Depth=1
	.loc	1 33 39 is_stmt 1               ; attention_fwd.py:33:39
	v_readlane_b32 s2, v213, 6
	v_add_u32_e32 v32, s2, v69
	.loc	1 33 21 is_stmt 0               ; attention_fwd.py:33:21
	v_ashrrev_i32_e32 v33, 31, v32
	.loc	1 33 51                         ; attention_fwd.py:33:51
	v_lshlrev_b64 v[32:33], 1, v[32:33]
	v_add_co_u32_e64 v32, s[26:27], v50, v32
	v_addc_co_u32_e64 v33, s[26:27], v1, v33, s[26:27]
	.loc	1 34 20 is_stmt 1               ; attention_fwd.py:34:20
	global_load_ushort v29, v[32:33], off
.LBB0_62:                               ;   in Loop: Header=BB0_38 Depth=1
	.loc	1 0 20 is_stmt 0                ; attention_fwd.py:0:20
	s_or_b64 exec, exec, s[0:1]
	.loc	1 32 27 is_stmt 1               ; attention_fwd.py:32:27
	v_add_u32_e32 v31, 48, v21
	.loc	1 34 51                         ; attention_fwd.py:34:51
	v_cmp_gt_i32_e64 s[26:27], s33, v31
	.loc	1 34 20 is_stmt 0               ; attention_fwd.py:34:20
	v_mov_b32_e32 v31, 0
	v_mov_b32_e32 v32, v31
	s_and_saveexec_b64 s[0:1], s[26:27]
	s_cbranch_execz .LBB0_64
; %bb.63:                               ;   in Loop: Header=BB0_38 Depth=1
	.loc	1 33 39 is_stmt 1               ; attention_fwd.py:33:39
	v_readlane_b32 s2, v213, 6
	v_add_u32_e32 v32, s2, v67
	.loc	1 33 21 is_stmt 0               ; attention_fwd.py:33:21
	v_ashrrev_i32_e32 v33, 31, v32
	.loc	1 33 51                         ; attention_fwd.py:33:51
	v_lshlrev_b64 v[32:33], 1, v[32:33]
	v_add_co_u32_e64 v32, s[28:29], v50, v32
	v_addc_co_u32_e64 v33, s[28:29], v1, v33, s[28:29]
	.loc	1 34 20 is_stmt 1               ; attention_fwd.py:34:20
	global_load_ushort v32, v[32:33], off
.LBB0_64:                               ;   in Loop: Header=BB0_38 Depth=1
	.loc	1 0 20 is_stmt 0                ; attention_fwd.py:0:20
	s_or_b64 exec, exec, s[0:1]
	.loc	1 32 27 is_stmt 1               ; attention_fwd.py:32:27
	v_add_u32_e32 v33, 52, v21
	.loc	1 34 51                         ; attention_fwd.py:34:51
	v_cmp_gt_i32_e64 s[28:29], s33, v33
	.loc	1 34 20 is_stmt 0               ; attention_fwd.py:34:20
	s_and_saveexec_b64 s[0:1], s[28:29]
	s_cbranch_execz .LBB0_66
; %bb.65:                               ;   in Loop: Header=BB0_38 Depth=1
	.loc	1 33 39 is_stmt 1               ; attention_fwd.py:33:39
	v_readlane_b32 s2, v213, 6
	v_add_u32_e32 v34, s2, v65
	.loc	1 33 21 is_stmt 0               ; attention_fwd.py:33:21
	v_ashrrev_i32_e32 v35, 31, v34
	.loc	1 33 51                         ; attention_fwd.py:33:51
	v_lshlrev_b64 v[34:35], 1, v[34:35]
	v_add_co_u32_e64 v34, s[30:31], v50, v34
	v_addc_co_u32_e64 v35, s[30:31], v1, v35, s[30:31]
	.loc	1 34 20 is_stmt 1               ; attention_fwd.py:34:20
	global_load_ushort v31, v[34:35], off
.LBB0_66:                               ;   in Loop: Header=BB0_38 Depth=1
	.loc	1 0 20 is_stmt 0                ; attention_fwd.py:0:20
	s_or_b64 exec, exec, s[0:1]
	.loc	1 32 27 is_stmt 1               ; attention_fwd.py:32:27
	v_add_u32_e32 v33, 56, v21
	.loc	1 34 51                         ; attention_fwd.py:34:51
	v_cmp_gt_i32_e64 s[30:31], s33, v33
	.loc	1 34 20 is_stmt 0               ; attention_fwd.py:34:20
	v_mov_b32_e32 v33, 0
	s_and_saveexec_b64 s[0:1], s[30:31]
	s_cbranch_execz .LBB0_68
; %bb.67:                               ;   in Loop: Header=BB0_38 Depth=1
	.loc	1 33 39 is_stmt 1               ; attention_fwd.py:33:39
	v_readlane_b32 s2, v213, 6
	v_add_u32_e32 v34, s2, v63
	.loc	1 33 21 is_stmt 0               ; attention_fwd.py:33:21
	v_ashrrev_i32_e32 v35, 31, v34
	.loc	1 33 51                         ; attention_fwd.py:33:51
	v_lshlrev_b64 v[34:35], 1, v[34:35]
	v_add_co_u32_e64 v34, s[34:35], v50, v34
	v_addc_co_u32_e64 v35, s[34:35], v1, v35, s[34:35]
	.loc	1 34 20 is_stmt 1               ; attention_fwd.py:34:20
	global_load_ushort v33, v[34:35], off
.LBB0_68:                               ;   in Loop: Header=BB0_38 Depth=1
	.loc	1 0 20 is_stmt 0                ; attention_fwd.py:0:20
	s_or_b64 exec, exec, s[0:1]
	.loc	1 32 27 is_stmt 1               ; attention_fwd.py:32:27
	v_add_u32_e32 v21, 60, v21
	.loc	1 34 51                         ; attention_fwd.py:34:51
	v_cmp_gt_i32_e64 s[34:35], s33, v21
	v_mov_b32_e32 v152, 0
	v_mov_b32_e32 v21, 0
	.loc	1 34 20 is_stmt 0               ; attention_fwd.py:34:20
	s_and_saveexec_b64 s[0:1], s[34:35]
	s_cbranch_execz .LBB0_70
; %bb.69:                               ;   in Loop: Header=BB0_38 Depth=1
	.loc	1 33 21 is_stmt 1               ; attention_fwd.py:33:21
	v_readlane_b32 s2, v213, 6
	v_add_u32_e32 v34, s2, v61
	v_ashrrev_i32_e32 v35, 31, v34
	.loc	1 33 51 is_stmt 0               ; attention_fwd.py:33:51
	v_lshlrev_b64 v[34:35], 1, v[34:35]
	v_add_co_u32_e64 v34, s[36:37], v50, v34
	v_addc_co_u32_e64 v35, s[36:37], v1, v35, s[36:37]
	.loc	1 34 20 is_stmt 1               ; attention_fwd.py:34:20
	global_load_ushort v21, v[34:35], off
.LBB0_70:                               ;   in Loop: Header=BB0_38 Depth=1
	.loc	1 0 20 is_stmt 0                ; attention_fwd.py:0:20
	s_or_b64 exec, exec, s[0:1]
	.loc	1 35 32 is_stmt 1               ; attention_fwd.py:35:32
	s_waitcnt vmcnt(0)
	v_perm_b32 v18, v28, v18, s15
	s_waitcnt lgkmcnt(0)
	s_barrier
	ds_write_b32 v92, v18
	v_perm_b32 v18, v27, v20, s15
	ds_write_b32 v93, v18 offset:256
	v_perm_b32 v18, v30, v19, s15
	ds_write_b32 v94, v18 offset:512
	;; [unrolled: 2-line block ×7, first 2 shown]
	s_waitcnt lgkmcnt(0)
	s_barrier
	ds_read2st64_b32 v[18:19], v101 offset1:8
	ds_read2st64_b32 v[20:21], v103 offset1:8
	;; [unrolled: 1-line block ×8, first 2 shown]
	.loc	1 35 23 is_stmt 0               ; attention_fwd.py:35:23
	ds_read2st64_b32 v[34:35], v100 offset1:8
	s_waitcnt lgkmcnt(8)
	v_perm_b32 v133, v19, v18, s15
	ds_read2st64_b32 v[36:37], v102 offset1:8
	ds_read2st64_b32 v[38:39], v104 offset1:8
	;; [unrolled: 1-line block ×3, first 2 shown]
	s_waitcnt lgkmcnt(3)
	v_perm_b32 v132, v35, v34, s15
	ds_read2st64_b32 v[42:43], v108 offset1:8
	ds_read2st64_b32 v[44:45], v110 offset1:8
	ds_read2st64_b32 v[46:47], v112 offset1:8
	ds_read2st64_b32 v[48:49], v114 offset1:8
	s_mov_b32 s0, 0x7060302
	v_perm_b32 v166, v35, v34, s0
	v_perm_b32 v167, v19, v18, s0
	s_waitcnt lgkmcnt(6)
	v_perm_b32 v134, v37, v36, s15
	s_waitcnt lgkmcnt(5)
	;; [unrolled: 2-line block ×7, first 2 shown]
	v_perm_b32 v164, v49, v48, s15
	v_perm_b32 v168, v37, v36, s0
	;; [unrolled: 1-line block ×8, first 2 shown]
	v_mfma_f32_32x32x8bf16_1k v[34:49], v[132:133], v[136:137], 0
	v_perm_b32 v135, v21, v20, s15
	v_perm_b32 v155, v23, v22, s15
	;; [unrolled: 1-line block ×14, first 2 shown]
	.loc	1 32 27 is_stmt 1               ; attention_fwd.py:32:27
	v_add_u32_e32 v153, s4, v57
	.loc	1 35 23                         ; attention_fwd.py:35:23
	v_mfma_f32_32x32x8bf16_1k v[18:33], v[166:167], v[136:137], 0
	.loc	1 32 27                         ; attention_fwd.py:32:27
	v_add_u32_e32 v184, 3, v153
	.loc	1 36 40                         ; attention_fwd.py:36:40
	v_cmp_le_i32_e64 s[0:1], s33, v184
	.loc	1 38 45                         ; attention_fwd.py:38:45
	v_cmp_lt_i32_e64 s[8:9], v121, v184
	.loc	1 32 27                         ; attention_fwd.py:32:27
	v_add_u32_e32 v185, 8, v153
	v_add_u32_e32 v195, 26, v153
	.loc	1 38 66                         ; attention_fwd.py:38:66
	s_or_b64 s[0:1], s[8:9], s[0:1]
	.loc	1 32 27                         ; attention_fwd.py:32:27
	v_add_u32_e32 v196, 27, v153
	.loc	1 36 40                         ; attention_fwd.py:36:40
	v_cmp_le_i32_e64 s[12:13], s33, v185
	v_cmp_le_i32_e64 s[70:71], s33, v195
	.loc	1 38 45                         ; attention_fwd.py:38:45
	v_cmp_lt_i32_e64 s[10:11], v121, v185
	.loc	1 32 27                         ; attention_fwd.py:32:27
	v_add_u32_e32 v182, 1, v153
	v_add_u32_e32 v197, 32, v153
	.loc	1 36 40                         ; attention_fwd.py:36:40
	v_cmp_le_i32_e64 s[68:69], s33, v196
	.loc	1 38 45                         ; attention_fwd.py:38:45
	v_cmp_lt_i32_e64 s[8:9], v121, v196
	.loc	1 38 66 is_stmt 0               ; attention_fwd.py:38:66
	s_or_b64 s[10:11], s[10:11], s[12:13]
	.loc	1 35 23 is_stmt 1               ; attention_fwd.py:35:23
	v_mfma_f32_32x32x8bf16_1k v[34:49], v[134:135], v[138:139], v[34:49]
	.loc	1 32 27                         ; attention_fwd.py:32:27
	v_add_u32_e32 v183, 2, v153
	v_add_u32_e32 v198, 33, v153
	.loc	1 36 40                         ; attention_fwd.py:36:40
	v_cmp_le_i32_e64 s[90:91], s33, v153
	v_cmp_le_i32_e64 s[92:93], s33, v182
	;; [unrolled: 1-line block ×3, first 2 shown]
	.loc	1 38 45                         ; attention_fwd.py:38:45
	v_cmp_lt_i32_e32 vcc, v121, v153
	v_cmp_le_i32_e64 s[2:3], v121, v153
	.loc	1 32 27                         ; attention_fwd.py:32:27
	v_add_u32_e32 v186, 9, v153
	.loc	1 36 40                         ; attention_fwd.py:36:40
	v_cmp_le_i32_e64 s[94:95], s33, v183
	v_cmp_le_i32_e64 s[64:65], s33, v198
	.loc	1 38 45                         ; attention_fwd.py:38:45
	v_cmp_lt_i32_e64 s[6:7], v121, v183
	.loc	1 38 66 is_stmt 0               ; attention_fwd.py:38:66
	s_or_b64 vcc, vcc, s[90:91]
	s_or_b64 s[2:3], s[2:3], s[92:93]
	.loc	1 38 45                         ; attention_fwd.py:38:45
	v_cmp_lt_i32_e64 s[12:13], v121, v198
	v_writelane_b32 v213, s4, 28
	.loc	1 35 23 is_stmt 1               ; attention_fwd.py:35:23
	v_mfma_f32_32x32x8bf16_1k v[18:33], v[168:169], v[138:139], v[18:33]
	.loc	1 32 27                         ; attention_fwd.py:32:27
	v_add_u32_e32 v187, 10, v153
	v_add_u32_e32 v188, 11, v153
	.loc	1 36 40                         ; attention_fwd.py:36:40
	v_cmp_le_i32_e64 s[4:5], s33, v186
	.loc	1 38 45                         ; attention_fwd.py:38:45
	v_cmp_lt_i32_e64 s[88:89], v121, v186
	.loc	1 38 66 is_stmt 0               ; attention_fwd.py:38:66
	s_or_b64 s[6:7], s[6:7], s[94:95]
	.loc	1 32 27 is_stmt 1               ; attention_fwd.py:32:27
	v_add_u32_e32 v189, 16, v153
	v_add_u32_e32 v190, 17, v153
	.loc	1 36 40                         ; attention_fwd.py:36:40
	v_cmp_le_i32_e64 s[86:87], s33, v187
	v_cmp_le_i32_e64 s[84:85], s33, v188
	.loc	1 38 45                         ; attention_fwd.py:38:45
	v_cmp_lt_i32_e64 s[16:17], v121, v187
	v_cmp_lt_i32_e64 s[18:19], v121, v188
	.loc	1 38 66 is_stmt 0               ; attention_fwd.py:38:66
	s_or_b64 s[4:5], s[88:89], s[4:5]
	.loc	1 32 27 is_stmt 1               ; attention_fwd.py:32:27
	v_add_u32_e32 v191, 18, v153
	v_add_u32_e32 v192, 19, v153
	;; [unrolled: 1-line block ×3, first 2 shown]
	.loc	1 35 23                         ; attention_fwd.py:35:23
	v_mfma_f32_32x32x8bf16_1k v[34:49], v[154:155], v[140:141], v[34:49]
	.loc	1 36 40                         ; attention_fwd.py:36:40
	v_cmp_le_i32_e64 s[82:83], s33, v189
	v_cmp_le_i32_e64 s[80:81], s33, v190
	.loc	1 38 45                         ; attention_fwd.py:38:45
	v_cmp_lt_i32_e64 s[90:91], v121, v190
	.loc	1 38 66 is_stmt 0               ; attention_fwd.py:38:66
	s_or_b64 s[16:17], s[16:17], s[86:87]
	s_or_b64 s[18:19], s[18:19], s[84:85]
	.loc	1 32 27 is_stmt 1               ; attention_fwd.py:32:27
	v_add_u32_e32 v194, 25, v153
	v_add_u32_e32 v199, 34, v153
	.loc	1 36 40                         ; attention_fwd.py:36:40
	v_cmp_le_i32_e64 s[78:79], s33, v191
	v_cmp_le_i32_e64 s[76:77], s33, v192
	v_cmp_le_i32_e64 s[74:75], s33, v193
	.loc	1 38 45                         ; attention_fwd.py:38:45
	v_cmp_lt_i32_e64 s[92:93], v121, v192
	.loc	1 38 66 is_stmt 0               ; attention_fwd.py:38:66
	s_or_b64 s[80:81], s[90:91], s[80:81]
	.loc	1 32 27 is_stmt 1               ; attention_fwd.py:32:27
	v_add_u32_e32 v200, 35, v153
	.loc	1 36 40                         ; attention_fwd.py:36:40
	v_cmp_le_i32_e64 s[72:73], s33, v194
	v_cmp_le_i32_e64 s[62:63], s33, v199
	.loc	1 35 23                         ; attention_fwd.py:35:23
	v_mfma_f32_32x32x8bf16_1k v[18:33], v[170:171], v[140:141], v[18:33]
	.loc	1 38 45                         ; attention_fwd.py:38:45
	v_cmp_lt_i32_e64 s[94:95], v121, v194
	.loc	1 38 66 is_stmt 0               ; attention_fwd.py:38:66
	s_or_b64 s[76:77], s[92:93], s[76:77]
	.loc	1 32 27 is_stmt 1               ; attention_fwd.py:32:27
	v_add_u32_e32 v201, 40, v153
	v_add_u32_e32 v205, 48, v153
	.loc	1 36 40                         ; attention_fwd.py:36:40
	v_cmp_le_i32_e64 s[60:61], s33, v200
	.loc	1 38 45                         ; attention_fwd.py:38:45
	v_cmp_lt_i32_e64 s[88:89], v121, v200
	.loc	1 32 27                         ; attention_fwd.py:32:27
	v_add_u32_e32 v202, 41, v153
	v_add_u32_e32 v206, 49, v153
	.loc	1 36 40                         ; attention_fwd.py:36:40
	v_cmp_le_i32_e64 s[58:59], s33, v201
	v_cmp_le_i32_e64 s[50:51], s33, v205
	.loc	1 32 27                         ; attention_fwd.py:32:27
	v_add_u32_e32 v203, 42, v153
	v_add_u32_e32 v207, 50, v153
	.loc	1 36 40                         ; attention_fwd.py:36:40
	v_cmp_le_i32_e64 s[56:57], s33, v202
	v_cmp_le_i32_e64 s[48:49], s33, v206
	.loc	1 38 45                         ; attention_fwd.py:38:45
	v_cmp_lt_i32_e64 s[86:87], v121, v202
	.loc	1 35 23                         ; attention_fwd.py:35:23
	v_mfma_f32_32x32x8bf16_1k v[34:49], v[156:157], v[142:143], v[34:49]
	.loc	1 32 27                         ; attention_fwd.py:32:27
	v_add_u32_e32 v204, 43, v153
	v_add_u32_e32 v208, 51, v153
	.loc	1 36 40                         ; attention_fwd.py:36:40
	v_cmp_le_i32_e64 s[54:55], s33, v203
	v_cmp_le_i32_e64 s[46:47], s33, v207
	.loc	1 32 27                         ; attention_fwd.py:32:27
	v_add_u32_e32 v209, 56, v153
	.loc	1 36 40                         ; attention_fwd.py:36:40
	v_cmp_le_i32_e64 s[52:53], s33, v204
	v_cmp_le_i32_e64 s[44:45], s33, v208
	.loc	1 38 45                         ; attention_fwd.py:38:45
	v_cmp_lt_i32_e64 s[84:85], v121, v204
	v_cmp_lt_i32_e64 s[90:91], v121, v208
	.loc	1 32 27                         ; attention_fwd.py:32:27
	v_add_u32_e32 v210, 57, v153
	.loc	1 36 40                         ; attention_fwd.py:36:40
	v_cmp_le_i32_e64 s[42:43], s33, v209
	.loc	1 32 27                         ; attention_fwd.py:32:27
	v_add_u32_e32 v211, 58, v153
	.loc	1 36 40                         ; attention_fwd.py:36:40
	v_cmp_le_i32_e64 s[40:41], s33, v210
	;; [unrolled: 4-line block ×3, first 2 shown]
	.loc	1 35 23                         ; attention_fwd.py:35:23
	v_mfma_f32_32x32x8bf16_1k v[18:33], v[172:173], v[142:143], v[18:33]
	.loc	1 36 40                         ; attention_fwd.py:36:40
	v_cmp_le_i32_e64 s[36:37], s33, v212
	.loc	1 38 45                         ; attention_fwd.py:38:45
	v_cmp_lt_i32_e64 s[92:93], v121, v212
	.loc	1 43 20                         ; attention_fwd.py:43:20
	s_waitcnt lgkmcnt(0)
	s_barrier
	.loc	1 35 23                         ; attention_fwd.py:35:23
	v_mfma_f32_32x32x8bf16_1k v[34:49], v[158:159], v[144:145], v[34:49]
	v_mfma_f32_32x32x8bf16_1k v[18:33], v[174:175], v[144:145], v[18:33]
	;; [unrolled: 1-line block ×8, first 2 shown]
	.loc	1 35 38 is_stmt 0               ; attention_fwd.py:35:38
	s_nop 15
	s_nop 1
	v_mul_f32_e32 v37, s14, v37
	.loc	1 38 66 is_stmt 1               ; attention_fwd.py:38:66
	v_cndmask_b32_e64 v37, v37, v126, s[0:1]
	.loc	1 38 45 is_stmt 0               ; attention_fwd.py:38:45
	v_cmp_lt_i32_e64 s[0:1], v121, v195
	.loc	1 35 38 is_stmt 1               ; attention_fwd.py:35:38
	v_mul_f32_e32 v38, s14, v38
	v_mul_f32_e32 v48, s14, v48
	.loc	1 38 66                         ; attention_fwd.py:38:66
	s_or_b64 s[0:1], s[0:1], s[70:71]
	.loc	1 35 38                         ; attention_fwd.py:35:38
	v_mul_f32_e32 v49, s14, v49
	.loc	1 38 66                         ; attention_fwd.py:38:66
	v_cndmask_b32_e64 v38, v38, v126, s[10:11]
	.loc	1 38 45 is_stmt 0               ; attention_fwd.py:38:45
	v_cmp_lt_i32_e64 s[10:11], v121, v197
	.loc	1 38 66                         ; attention_fwd.py:38:66
	v_cndmask_b32_e64 v48, v48, v126, s[0:1]
	s_or_b64 s[0:1], s[8:9], s[68:69]
	.loc	1 35 38 is_stmt 1               ; attention_fwd.py:35:38
	v_mul_f32_e32 v34, s14, v34
	v_mul_f32_e32 v35, s14, v35
	.loc	1 38 66                         ; attention_fwd.py:38:66
	v_cndmask_b32_e64 v49, v49, v126, s[0:1]
	s_or_b64 s[0:1], s[10:11], s[66:67]
	.loc	1 35 38                         ; attention_fwd.py:35:38
	v_mul_f32_e32 v18, s14, v18
	v_mul_f32_e32 v36, s14, v36
	;; [unrolled: 1-line block ×3, first 2 shown]
	.loc	1 38 66                         ; attention_fwd.py:38:66
	v_cndmask_b32_e32 v34, v34, v126, vcc
	v_cndmask_b32_e64 v35, v35, v126, s[2:3]
	v_cndmask_b32_e64 v18, v18, v126, s[0:1]
	s_or_b64 s[0:1], s[12:13], s[64:65]
	.loc	1 35 38                         ; attention_fwd.py:35:38
	v_mul_f32_e32 v39, s14, v39
	.loc	1 38 66                         ; attention_fwd.py:38:66
	v_cndmask_b32_e64 v36, v36, v126, s[6:7]
	v_cndmask_b32_e64 v132, v19, v126, s[0:1]
.Ltmp4:
	.loc	2 170 27                        ; standard.py:170:27 @[ standard.py:191:40 @[ attention_fwd.py:39:42 ] ]
	v_max_f32_e32 v19, v34, v35
.Ltmp5:
	.loc	1 35 38                         ; attention_fwd.py:35:38
	v_mul_f32_e32 v40, s14, v40
	v_mul_f32_e32 v41, s14, v41
	.loc	1 38 45                         ; attention_fwd.py:38:45
	v_cmp_lt_i32_e32 vcc, v121, v189
	.loc	1 38 66 is_stmt 0               ; attention_fwd.py:38:66
	v_cndmask_b32_e64 v39, v39, v126, s[4:5]
.Ltmp6:
	.loc	2 170 27 is_stmt 1              ; standard.py:170:27 @[ standard.py:191:40 @[ attention_fwd.py:39:42 ] ]
	v_max3_f32 v19, v19, v36, v37
.Ltmp7:
	.loc	1 35 38                         ; attention_fwd.py:35:38
	v_mul_f32_e32 v42, s14, v42
	v_mul_f32_e32 v43, s14, v43
	.loc	1 38 45                         ; attention_fwd.py:38:45
	v_cmp_lt_i32_e64 s[2:3], v121, v191
	v_cmp_lt_i32_e64 s[6:7], v121, v193
	.loc	1 38 66 is_stmt 0               ; attention_fwd.py:38:66
	v_cndmask_b32_e64 v40, v40, v126, s[16:17]
	v_cndmask_b32_e64 v41, v41, v126, s[18:19]
	s_or_b64 vcc, vcc, s[82:83]
.Ltmp8:
	.loc	2 170 27 is_stmt 1              ; standard.py:170:27 @[ standard.py:191:40 @[ attention_fwd.py:39:42 ] ]
	v_max3_f32 v19, v19, v38, v39
.Ltmp9:
	.loc	1 35 38                         ; attention_fwd.py:35:38
	v_mul_f32_e32 v44, s14, v44
	v_mul_f32_e32 v45, s14, v45
	;; [unrolled: 1-line block ×3, first 2 shown]
	.loc	1 38 45                         ; attention_fwd.py:38:45
	v_cmp_lt_i32_e64 s[4:5], v121, v199
	.loc	1 38 66 is_stmt 0               ; attention_fwd.py:38:66
	v_cndmask_b32_e32 v42, v42, v126, vcc
	v_cndmask_b32_e64 v43, v43, v126, s[80:81]
	s_or_b64 s[2:3], s[2:3], s[78:79]
	s_or_b64 s[6:7], s[6:7], s[74:75]
.Ltmp10:
	.loc	2 170 27 is_stmt 1              ; standard.py:170:27 @[ standard.py:191:40 @[ attention_fwd.py:39:42 ] ]
	v_max3_f32 v19, v19, v40, v41
.Ltmp11:
	.loc	1 35 38                         ; attention_fwd.py:35:38
	v_mul_f32_e32 v47, s14, v47
	v_mul_f32_e32 v20, s14, v20
	.loc	1 38 66                         ; attention_fwd.py:38:66
	v_cndmask_b32_e64 v44, v44, v126, s[2:3]
	v_cndmask_b32_e64 v45, v45, v126, s[76:77]
	;; [unrolled: 1-line block ×3, first 2 shown]
	s_or_b64 s[6:7], s[94:95], s[72:73]
	s_or_b64 s[0:1], s[4:5], s[62:63]
.Ltmp12:
	.loc	2 170 27                        ; standard.py:170:27 @[ standard.py:191:40 @[ attention_fwd.py:39:42 ] ]
	v_max3_f32 v19, v19, v42, v43
.Ltmp13:
	.loc	1 35 38                         ; attention_fwd.py:35:38
	v_mul_f32_e32 v21, s14, v21
	.loc	1 38 45                         ; attention_fwd.py:38:45
	v_cmp_lt_i32_e64 s[16:17], v121, v201
	v_cmp_lt_i32_e32 vcc, v121, v205
	.loc	1 38 66 is_stmt 0               ; attention_fwd.py:38:66
	v_cndmask_b32_e64 v47, v47, v126, s[6:7]
	v_cndmask_b32_e64 v20, v20, v126, s[0:1]
	s_or_b64 s[0:1], s[88:89], s[60:61]
.Ltmp14:
	.loc	2 170 27 is_stmt 1              ; standard.py:170:27 @[ standard.py:191:40 @[ attention_fwd.py:39:42 ] ]
	v_max3_f32 v19, v19, v44, v45
.Ltmp15:
	.loc	1 35 38                         ; attention_fwd.py:35:38
	v_mul_f32_e32 v22, s14, v22
	v_mul_f32_e32 v26, s14, v26
	.loc	1 38 45                         ; attention_fwd.py:38:45
	v_cmp_lt_i32_e64 s[82:83], v121, v206
	.loc	1 38 66 is_stmt 0               ; attention_fwd.py:38:66
	v_cndmask_b32_e64 v21, v21, v126, s[0:1]
	s_or_b64 s[0:1], s[16:17], s[58:59]
	s_or_b64 vcc, vcc, s[50:51]
.Ltmp16:
	.loc	2 170 27 is_stmt 1              ; standard.py:170:27 @[ standard.py:191:40 @[ attention_fwd.py:39:42 ] ]
	v_max3_f32 v19, v19, v46, v47
.Ltmp17:
	.loc	1 35 38                         ; attention_fwd.py:35:38
	v_mul_f32_e32 v23, s14, v23
	v_mul_f32_e32 v27, s14, v27
	.loc	1 38 45                         ; attention_fwd.py:38:45
	v_cmp_lt_i32_e64 s[18:19], v121, v203
	v_cmp_lt_i32_e64 s[80:81], v121, v207
	.loc	1 38 66 is_stmt 0               ; attention_fwd.py:38:66
	v_cndmask_b32_e64 v22, v22, v126, s[0:1]
	s_or_b64 s[0:1], s[86:87], s[56:57]
	v_cndmask_b32_e32 v26, v26, v126, vcc
	s_or_b64 vcc, s[82:83], s[48:49]
.Ltmp18:
	.loc	2 170 27 is_stmt 1              ; standard.py:170:27 @[ standard.py:191:40 @[ attention_fwd.py:39:42 ] ]
	v_max3_f32 v19, v19, v48, v49
.Ltmp19:
	.loc	1 35 38                         ; attention_fwd.py:35:38
	v_mul_f32_e32 v24, s14, v24
	v_mul_f32_e32 v28, s14, v28
	.loc	1 38 66                         ; attention_fwd.py:38:66
	v_cndmask_b32_e64 v23, v23, v126, s[0:1]
	s_or_b64 s[0:1], s[18:19], s[54:55]
	v_cndmask_b32_e32 v27, v27, v126, vcc
	s_or_b64 vcc, s[80:81], s[46:47]
.Ltmp20:
	.loc	2 170 27                        ; standard.py:170:27 @[ standard.py:191:40 @[ attention_fwd.py:39:42 ] ]
	v_max3_f32 v19, v19, v18, v132
.Ltmp21:
	.loc	1 35 38                         ; attention_fwd.py:35:38
	v_mul_f32_e32 v25, s14, v25
	v_mul_f32_e32 v29, s14, v29
	.loc	1 38 45                         ; attention_fwd.py:38:45
	v_cmp_lt_i32_e64 s[2:3], v121, v209
	.loc	1 38 66 is_stmt 0               ; attention_fwd.py:38:66
	v_cndmask_b32_e64 v24, v24, v126, s[0:1]
	s_or_b64 s[0:1], s[84:85], s[52:53]
	v_cndmask_b32_e32 v28, v28, v126, vcc
	s_or_b64 vcc, s[90:91], s[44:45]
.Ltmp22:
	.loc	2 170 27 is_stmt 1              ; standard.py:170:27 @[ standard.py:191:40 @[ attention_fwd.py:39:42 ] ]
	v_max3_f32 v19, v19, v20, v21
.Ltmp23:
	.loc	1 35 38                         ; attention_fwd.py:35:38
	v_mul_f32_e32 v30, s14, v30
	.loc	1 38 45                         ; attention_fwd.py:38:45
	v_cmp_lt_i32_e64 s[78:79], v121, v210
	.loc	1 38 66 is_stmt 0               ; attention_fwd.py:38:66
	v_cndmask_b32_e64 v25, v25, v126, s[0:1]
	v_cndmask_b32_e32 v29, v29, v126, vcc
	s_or_b64 vcc, s[2:3], s[42:43]
.Ltmp24:
	.loc	2 170 27 is_stmt 1              ; standard.py:170:27 @[ standard.py:191:40 @[ attention_fwd.py:39:42 ] ]
	v_max3_f32 v19, v19, v22, v23
.Ltmp25:
	.loc	1 35 38                         ; attention_fwd.py:35:38
	v_mul_f32_e32 v31, s14, v31
	.loc	1 38 45                         ; attention_fwd.py:38:45
	v_cmp_lt_i32_e64 s[76:77], v121, v211
	.loc	1 38 66 is_stmt 0               ; attention_fwd.py:38:66
	v_cndmask_b32_e32 v30, v30, v126, vcc
	s_or_b64 vcc, s[78:79], s[40:41]
.Ltmp26:
	.loc	2 170 27 is_stmt 1              ; standard.py:170:27 @[ standard.py:191:40 @[ attention_fwd.py:39:42 ] ]
	v_max3_f32 v19, v19, v24, v25
.Ltmp27:
	.loc	1 35 38                         ; attention_fwd.py:35:38
	v_mul_f32_e32 v32, s14, v32
	.loc	1 38 66                         ; attention_fwd.py:38:66
	v_cndmask_b32_e32 v31, v31, v126, vcc
	s_or_b64 vcc, s[76:77], s[38:39]
.Ltmp28:
	.loc	2 170 27                        ; standard.py:170:27 @[ standard.py:191:40 @[ attention_fwd.py:39:42 ] ]
	v_max3_f32 v19, v19, v26, v27
.Ltmp29:
	.loc	1 35 38                         ; attention_fwd.py:35:38
	v_mul_f32_e32 v33, s14, v33
	.loc	1 38 66                         ; attention_fwd.py:38:66
	v_cndmask_b32_e32 v32, v32, v126, vcc
	s_or_b64 vcc, s[92:93], s[36:37]
.Ltmp30:
	.loc	2 170 27                        ; standard.py:170:27 @[ standard.py:191:40 @[ attention_fwd.py:39:42 ] ]
	v_max3_f32 v19, v19, v28, v29
.Ltmp31:
	.loc	1 38 66                         ; attention_fwd.py:38:66
	v_cndmask_b32_e32 v33, v33, v126, vcc
.Ltmp32:
	.loc	2 170 27                        ; standard.py:170:27 @[ standard.py:191:40 @[ attention_fwd.py:39:42 ] ]
	v_max3_f32 v19, v19, v30, v31
	v_max3_f32 v19, v19, v32, v33
.Ltmp33:
	.loc	2 191 40                        ; standard.py:191:40 @[ attention_fwd.py:39:42 ]
	ds_bpermute_b32 v133, v59, v19
	s_mov_b32 s2, 0xc2fc0000
.Ltmp34:
	.loc	1 39 31                         ; attention_fwd.py:39:31
	s_waitcnt lgkmcnt(0)
	v_max3_f32 v19, v131, v19, v133
	.loc	1 40 24                         ; attention_fwd.py:40:24
	v_sub_f32_e32 v34, v34, v19
	v_sub_f32_e32 v133, v23, v19
	.loc	1 40 19 is_stmt 0               ; attention_fwd.py:40:19
	v_mul_f32_e32 v23, 0x3fb8aa3b, v34
	v_cmp_gt_f32_e32 vcc, s2, v23
	v_cndmask_b32_e32 v23, 0, v127, vcc
	v_fmac_f32_e32 v23, 0x3fb8aa3b, v34
	v_exp_f32_e32 v23, v23
	.loc	1 40 24                         ; attention_fwd.py:40:24
	v_sub_f32_e32 v35, v35, v19
	v_sub_f32_e32 v134, v24, v19
	.loc	1 40 19                         ; attention_fwd.py:40:19
	v_cndmask_b32_e32 v24, 0, v128, vcc
	.loc	1 40 24                         ; attention_fwd.py:40:24
	v_sub_f32_e32 v36, v36, v19
	.loc	1 40 19                         ; attention_fwd.py:40:19
	v_ldexp_f32 v23, v23, v24
	v_mul_f32_e32 v24, 0x3fb8aa3b, v35
	.loc	1 40 24                         ; attention_fwd.py:40:24
	v_sub_f32_e32 v135, v25, v19
	.loc	1 40 19                         ; attention_fwd.py:40:19
	v_cmp_gt_f32_e32 vcc, s2, v24
	v_mul_f32_e32 v25, 0x3fb8aa3b, v36
	v_cndmask_b32_e32 v24, 0, v127, vcc
	v_cmp_gt_f32_e64 s[0:1], s2, v25
	v_fmac_f32_e32 v24, 0x3fb8aa3b, v35
	v_cndmask_b32_e64 v25, 0, v127, s[0:1]
	v_exp_f32_e32 v24, v24
	v_fmac_f32_e32 v25, 0x3fb8aa3b, v36
	.loc	1 40 24                         ; attention_fwd.py:40:24
	v_sub_f32_e32 v153, v26, v19
	.loc	1 40 19                         ; attention_fwd.py:40:19
	v_exp_f32_e32 v26, v25
	v_cndmask_b32_e32 v25, 0, v128, vcc
	.loc	1 40 24                         ; attention_fwd.py:40:24
	v_sub_f32_e32 v37, v37, v19
	.loc	1 40 19                         ; attention_fwd.py:40:19
	v_ldexp_f32 v25, v24, v25
	v_cndmask_b32_e64 v24, 0, v128, s[0:1]
	.loc	1 40 24                         ; attention_fwd.py:40:24
	v_sub_f32_e32 v38, v38, v19
	.loc	1 40 19                         ; attention_fwd.py:40:19
	v_ldexp_f32 v24, v26, v24
	v_mul_f32_e32 v26, 0x3fb8aa3b, v37
	.loc	1 40 24                         ; attention_fwd.py:40:24
	v_sub_f32_e32 v154, v27, v19
	.loc	1 40 19                         ; attention_fwd.py:40:19
	v_cmp_gt_f32_e32 vcc, s2, v26
	v_mul_f32_e32 v27, 0x3fb8aa3b, v38
	v_cndmask_b32_e32 v26, 0, v127, vcc
	v_cmp_gt_f32_e64 s[0:1], s2, v27
	v_fmac_f32_e32 v26, 0x3fb8aa3b, v37
	v_cndmask_b32_e64 v27, 0, v127, s[0:1]
	v_exp_f32_e32 v26, v26
	v_fmac_f32_e32 v27, 0x3fb8aa3b, v38
	.loc	1 40 24                         ; attention_fwd.py:40:24
	v_sub_f32_e32 v155, v28, v19
	.loc	1 40 19                         ; attention_fwd.py:40:19
	v_exp_f32_e32 v28, v27
	v_cndmask_b32_e32 v27, 0, v128, vcc
	.loc	1 40 24                         ; attention_fwd.py:40:24
	v_sub_f32_e32 v39, v39, v19
	.loc	1 40 19                         ; attention_fwd.py:40:19
	v_ldexp_f32 v27, v26, v27
	v_cndmask_b32_e64 v26, 0, v128, s[0:1]
	;; [unrolled: 26-line block ×4, first 2 shown]
	.loc	1 40 24                         ; attention_fwd.py:40:24
	v_sub_f32_e32 v44, v44, v19
	.loc	1 40 19                         ; attention_fwd.py:40:19
	v_ldexp_f32 v30, v32, v30
	v_mul_f32_e32 v32, 0x3fb8aa3b, v43
	.loc	1 40 24                         ; attention_fwd.py:40:24
	v_sub_f32_e32 v160, v33, v19
	.loc	1 40 19                         ; attention_fwd.py:40:19
	v_cmp_gt_f32_e32 vcc, s2, v32
	v_mul_f32_e32 v33, 0x3fb8aa3b, v44
	v_cndmask_b32_e32 v32, 0, v127, vcc
	v_cmp_gt_f32_e64 s[0:1], s2, v33
	v_fmac_f32_e32 v32, 0x3fb8aa3b, v43
	v_cndmask_b32_e64 v33, 0, v127, s[0:1]
	v_exp_f32_e32 v32, v32
	v_fmac_f32_e32 v33, 0x3fb8aa3b, v44
	v_exp_f32_e32 v34, v33
	v_cndmask_b32_e32 v33, 0, v128, vcc
	.loc	1 40 24                         ; attention_fwd.py:40:24
	v_sub_f32_e32 v45, v45, v19
	.loc	1 40 19                         ; attention_fwd.py:40:19
	v_ldexp_f32 v33, v32, v33
	v_cndmask_b32_e64 v32, 0, v128, s[0:1]
	.loc	1 40 24                         ; attention_fwd.py:40:24
	v_sub_f32_e32 v46, v46, v19
	.loc	1 40 19                         ; attention_fwd.py:40:19
	v_ldexp_f32 v32, v34, v32
	v_mul_f32_e32 v34, 0x3fb8aa3b, v45
	v_cmp_gt_f32_e32 vcc, s2, v34
	v_mul_f32_e32 v35, 0x3fb8aa3b, v46
	v_cndmask_b32_e32 v34, 0, v127, vcc
	v_cmp_gt_f32_e64 s[0:1], s2, v35
	v_fmac_f32_e32 v34, 0x3fb8aa3b, v45
	v_cndmask_b32_e64 v35, 0, v127, s[0:1]
	v_exp_f32_e32 v34, v34
	v_fmac_f32_e32 v35, 0x3fb8aa3b, v46
	v_exp_f32_e32 v36, v35
	v_cndmask_b32_e32 v35, 0, v128, vcc
	.loc	1 40 24                         ; attention_fwd.py:40:24
	v_sub_f32_e32 v47, v47, v19
	.loc	1 40 19                         ; attention_fwd.py:40:19
	v_ldexp_f32 v35, v34, v35
	v_cndmask_b32_e64 v34, 0, v128, s[0:1]
	.loc	1 40 24                         ; attention_fwd.py:40:24
	v_sub_f32_e32 v48, v48, v19
	.loc	1 40 19                         ; attention_fwd.py:40:19
	v_ldexp_f32 v34, v36, v34
	v_mul_f32_e32 v36, 0x3fb8aa3b, v47
	v_cmp_gt_f32_e32 vcc, s2, v36
	v_mul_f32_e32 v37, 0x3fb8aa3b, v48
	v_cndmask_b32_e32 v36, 0, v127, vcc
	v_cmp_gt_f32_e64 s[0:1], s2, v37
	v_fmac_f32_e32 v36, 0x3fb8aa3b, v47
	v_cndmask_b32_e64 v37, 0, v127, s[0:1]
	v_exp_f32_e32 v36, v36
	v_fmac_f32_e32 v37, 0x3fb8aa3b, v48
	v_exp_f32_e32 v38, v37
	v_cndmask_b32_e32 v37, 0, v128, vcc
	.loc	1 40 24                         ; attention_fwd.py:40:24
	v_sub_f32_e32 v49, v49, v19
	.loc	1 40 19                         ; attention_fwd.py:40:19
	v_ldexp_f32 v37, v36, v37
	v_cndmask_b32_e64 v36, 0, v128, s[0:1]
	.loc	1 40 24                         ; attention_fwd.py:40:24
	v_sub_f32_e32 v18, v18, v19
	.loc	1 40 19                         ; attention_fwd.py:40:19
	v_ldexp_f32 v36, v38, v36
	v_mul_f32_e32 v38, 0x3fb8aa3b, v49
	v_cmp_gt_f32_e32 vcc, s2, v38
	v_mul_f32_e32 v39, 0x3fb8aa3b, v18
	v_cndmask_b32_e32 v38, 0, v127, vcc
	v_cmp_gt_f32_e64 s[0:1], s2, v39
	v_fmac_f32_e32 v38, 0x3fb8aa3b, v49
	v_cndmask_b32_e64 v39, 0, v127, s[0:1]
	v_exp_f32_e32 v38, v38
	v_fmac_f32_e32 v39, 0x3fb8aa3b, v18
	v_exp_f32_e32 v18, v39
	v_cndmask_b32_e32 v39, 0, v128, vcc
	.loc	1 40 24                         ; attention_fwd.py:40:24
	v_sub_f32_e32 v132, v132, v19
	.loc	1 40 19                         ; attention_fwd.py:40:19
	v_ldexp_f32 v39, v38, v39
	v_cndmask_b32_e64 v38, 0, v128, s[0:1]
	.loc	1 40 24                         ; attention_fwd.py:40:24
	v_sub_f32_e32 v20, v20, v19
	.loc	1 40 19                         ; attention_fwd.py:40:19
	v_ldexp_f32 v38, v18, v38
	v_mul_f32_e32 v18, 0x3fb8aa3b, v132
	v_cmp_gt_f32_e32 vcc, s2, v18
	v_mul_f32_e32 v40, 0x3fb8aa3b, v20
	v_cndmask_b32_e32 v18, 0, v127, vcc
	v_cmp_gt_f32_e64 s[0:1], s2, v40
	v_fmac_f32_e32 v18, 0x3fb8aa3b, v132
	v_cndmask_b32_e64 v40, 0, v127, s[0:1]
	v_exp_f32_e32 v18, v18
	v_fmac_f32_e32 v40, 0x3fb8aa3b, v20
	v_exp_f32_e32 v20, v40
	v_cndmask_b32_e32 v40, 0, v128, vcc
	.loc	1 40 24                         ; attention_fwd.py:40:24
	v_sub_f32_e32 v21, v21, v19
	.loc	1 40 19                         ; attention_fwd.py:40:19
	v_ldexp_f32 v41, v18, v40
	v_cndmask_b32_e64 v18, 0, v128, s[0:1]
	.loc	1 40 24                         ; attention_fwd.py:40:24
	v_sub_f32_e32 v22, v22, v19
	.loc	1 40 19                         ; attention_fwd.py:40:19
	v_ldexp_f32 v40, v20, v18
	v_mul_f32_e32 v18, 0x3fb8aa3b, v21
	v_cmp_gt_f32_e32 vcc, s2, v18
	v_mul_f32_e32 v20, 0x3fb8aa3b, v22
	v_cndmask_b32_e32 v18, 0, v127, vcc
	v_cmp_gt_f32_e64 s[0:1], s2, v20
	v_fmac_f32_e32 v18, 0x3fb8aa3b, v21
	v_cndmask_b32_e64 v20, 0, v127, s[0:1]
	v_exp_f32_e32 v18, v18
	v_fmac_f32_e32 v20, 0x3fb8aa3b, v22
	v_exp_f32_e32 v20, v20
	v_cndmask_b32_e32 v21, 0, v128, vcc
	v_ldexp_f32 v43, v18, v21
	v_cndmask_b32_e64 v18, 0, v128, s[0:1]
	v_ldexp_f32 v42, v20, v18
	v_mul_f32_e32 v18, 0x3fb8aa3b, v133
	v_cmp_gt_f32_e32 vcc, s2, v18
	v_mul_f32_e32 v20, 0x3fb8aa3b, v134
	v_cndmask_b32_e32 v18, 0, v127, vcc
	v_cmp_gt_f32_e64 s[0:1], s2, v20
	v_fmac_f32_e32 v18, 0x3fb8aa3b, v133
	v_cndmask_b32_e64 v20, 0, v127, s[0:1]
	v_exp_f32_e32 v18, v18
	v_fmac_f32_e32 v20, 0x3fb8aa3b, v134
	v_exp_f32_e32 v20, v20
	v_cndmask_b32_e32 v21, 0, v128, vcc
	v_ldexp_f32 v45, v18, v21
	v_cndmask_b32_e64 v18, 0, v128, s[0:1]
	v_ldexp_f32 v44, v20, v18
	v_mul_f32_e32 v18, 0x3fb8aa3b, v135
	;; [unrolled: 14-line block ×6, first 2 shown]
	.loc	1 41 29 is_stmt 1               ; attention_fwd.py:41:29
	v_sub_f32_e32 v20, v131, v19
	.loc	1 40 19                         ; attention_fwd.py:40:19
	v_cmp_gt_f32_e32 vcc, s2, v18
	.loc	1 41 23                         ; attention_fwd.py:41:23
	v_mul_f32_e32 v21, 0x3fb8aa3b, v20
	.loc	1 40 19                         ; attention_fwd.py:40:19
	v_cndmask_b32_e32 v18, 0, v127, vcc
	.loc	1 41 23                         ; attention_fwd.py:41:23
	v_cmp_gt_f32_e64 s[0:1], s2, v21
	.loc	1 40 19                         ; attention_fwd.py:40:19
	v_fmac_f32_e32 v18, 0x3fb8aa3b, v160
	.loc	1 41 23                         ; attention_fwd.py:41:23
	v_cndmask_b32_e64 v21, 0, v127, s[0:1]
	.loc	1 40 19                         ; attention_fwd.py:40:19
	v_exp_f32_e32 v18, v18
	.loc	1 41 23                         ; attention_fwd.py:41:23
	v_fmac_f32_e32 v21, 0x3fb8aa3b, v20
	v_exp_f32_e32 v20, v21
	.loc	1 40 19                         ; attention_fwd.py:40:19
	v_cndmask_b32_e32 v21, 0, v128, vcc
	v_ldexp_f32 v131, v18, v21
	.loc	1 41 23                         ; attention_fwd.py:41:23
	v_cndmask_b32_e64 v18, 0, v128, s[0:1]
	v_ldexp_f32 v20, v20, v18
.Ltmp35:
	.loc	2 263 15                        ; standard.py:263:15 @[ standard.py:293:36 @[ attention_fwd.py:42:38 ] ]
	v_add_f32_e32 v18, v23, v25
	v_add_f32_e32 v18, v24, v18
	;; [unrolled: 1-line block ×31, first 2 shown]
.Ltmp36:
	.loc	1 43 20                         ; attention_fwd.py:43:20
	v_add_u32_e32 v18, v122, v56
	ds_write_b32 v18, v20
	v_add_u32_e32 v18, v122, v54
.Ltmp37:
	.loc	2 293 36                        ; standard.py:293:36 @[ attention_fwd.py:42:38 ]
	ds_bpermute_b32 v22, v59, v21
.Ltmp38:
	.loc	1 43 20                         ; attention_fwd.py:43:20
	s_waitcnt lgkmcnt(0)
	s_barrier
	ds_read_b32 v18, v18
	.loc	1 45 20                         ; attention_fwd.py:45:20
	s_mov_b64 s[0:1], exec
	v_readlane_b32 s2, v213, 10
	v_readlane_b32 s3, v213, 11
	s_and_b64 s[2:3], s[0:1], s[2:3]
	s_mov_b64 exec, s[2:3]
	s_cbranch_execz .LBB0_72
; %bb.71:                               ;   in Loop: Header=BB0_38 Depth=1
	.loc	1 0 20 is_stmt 0                ; attention_fwd.py:0:20
	v_readlane_b32 s2, v213, 9
	v_add_u32_e32 v152, s2, v123
	v_ashrrev_i32_e32 v153, 31, v152
	v_lshlrev_b64 v[152:153], 1, v[152:153]
	v_add_co_u32_e32 v152, vcc, v0, v152
	v_addc_co_u32_e32 v153, vcc, v51, v153, vcc
	.loc	1 45 20                         ; attention_fwd.py:45:20
	global_load_ushort v152, v[152:153], off
.LBB0_72:                               ;   in Loop: Header=BB0_38 Depth=1
	.loc	1 0 20                          ; attention_fwd.py:0:20
	s_or_b64 exec, exec, s[0:1]
	v_mov_b32_e32 v153, 0
	v_mov_b32_e32 v154, 0
	.loc	1 45 20                         ; attention_fwd.py:45:20
	s_mov_b64 s[0:1], exec
	v_readlane_b32 s2, v213, 12
	v_readlane_b32 s3, v213, 13
	s_and_b64 s[2:3], s[0:1], s[2:3]
	s_mov_b64 exec, s[2:3]
	s_cbranch_execz .LBB0_74
; %bb.73:                               ;   in Loop: Header=BB0_38 Depth=1
	.loc	1 44 39 is_stmt 1               ; attention_fwd.py:44:39
	v_readlane_b32 s2, v213, 9
	v_add_u32_e32 v154, s2, v90
	.loc	1 44 21 is_stmt 0               ; attention_fwd.py:44:21
	v_ashrrev_i32_e32 v155, 31, v154
	.loc	1 44 51                         ; attention_fwd.py:44:51
	v_lshlrev_b64 v[154:155], 1, v[154:155]
	v_add_co_u32_e32 v154, vcc, v0, v154
	v_addc_co_u32_e32 v155, vcc, v51, v155, vcc
	.loc	1 45 20 is_stmt 1               ; attention_fwd.py:45:20
	global_load_ushort v154, v[154:155], off
.LBB0_74:                               ;   in Loop: Header=BB0_38 Depth=1
	.loc	1 0 20 is_stmt 0                ; attention_fwd.py:0:20
	s_or_b64 exec, exec, s[0:1]
	.loc	1 45 20                         ; attention_fwd.py:45:20
	s_mov_b64 s[0:1], exec
	v_readlane_b32 s2, v213, 14
	v_readlane_b32 s3, v213, 15
	s_and_b64 s[2:3], s[0:1], s[2:3]
	v_readlane_b32 s4, v213, 28
	s_mov_b64 exec, s[2:3]
	s_cbranch_execz .LBB0_76
; %bb.75:                               ;   in Loop: Header=BB0_38 Depth=1
	.loc	1 44 39 is_stmt 1               ; attention_fwd.py:44:39
	v_readlane_b32 s2, v213, 9
	v_add_u32_e32 v156, s2, v86
	.loc	1 44 21 is_stmt 0               ; attention_fwd.py:44:21
	v_ashrrev_i32_e32 v157, 31, v156
	.loc	1 44 51                         ; attention_fwd.py:44:51
	v_lshlrev_b64 v[156:157], 1, v[156:157]
	v_add_co_u32_e32 v156, vcc, v0, v156
	v_addc_co_u32_e32 v157, vcc, v51, v157, vcc
	.loc	1 45 20 is_stmt 1               ; attention_fwd.py:45:20
	global_load_ushort v153, v[156:157], off
.LBB0_76:                               ;   in Loop: Header=BB0_38 Depth=1
	.loc	1 0 20 is_stmt 0                ; attention_fwd.py:0:20
	s_or_b64 exec, exec, s[0:1]
	v_mov_b32_e32 v155, 0
	v_mov_b32_e32 v156, 0
	.loc	1 45 20                         ; attention_fwd.py:45:20
	s_mov_b64 s[0:1], exec
	v_readlane_b32 s2, v213, 16
	v_readlane_b32 s3, v213, 17
	s_and_b64 s[2:3], s[0:1], s[2:3]
	s_mov_b64 exec, s[2:3]
	s_cbranch_execz .LBB0_78
; %bb.77:                               ;   in Loop: Header=BB0_38 Depth=1
	.loc	1 44 39 is_stmt 1               ; attention_fwd.py:44:39
	v_readlane_b32 s2, v213, 9
	v_add_u32_e32 v156, s2, v84
	.loc	1 44 21 is_stmt 0               ; attention_fwd.py:44:21
	v_ashrrev_i32_e32 v157, 31, v156
	.loc	1 44 51                         ; attention_fwd.py:44:51
	v_lshlrev_b64 v[156:157], 1, v[156:157]
	v_add_co_u32_e32 v156, vcc, v0, v156
	v_addc_co_u32_e32 v157, vcc, v51, v157, vcc
	.loc	1 45 20 is_stmt 1               ; attention_fwd.py:45:20
	global_load_ushort v156, v[156:157], off
.LBB0_78:                               ;   in Loop: Header=BB0_38 Depth=1
	.loc	1 0 20 is_stmt 0                ; attention_fwd.py:0:20
	s_or_b64 exec, exec, s[0:1]
	.loc	1 45 20                         ; attention_fwd.py:45:20
	s_mov_b64 s[0:1], exec
	v_readlane_b32 s2, v213, 18
	v_readlane_b32 s3, v213, 19
	s_and_b64 s[2:3], s[0:1], s[2:3]
	s_mov_b64 exec, s[2:3]
	s_cbranch_execz .LBB0_80
; %bb.79:                               ;   in Loop: Header=BB0_38 Depth=1
	.loc	1 44 39 is_stmt 1               ; attention_fwd.py:44:39
	v_readlane_b32 s2, v213, 9
	v_add_u32_e32 v158, s2, v82
	.loc	1 44 21 is_stmt 0               ; attention_fwd.py:44:21
	v_ashrrev_i32_e32 v159, 31, v158
	.loc	1 44 51                         ; attention_fwd.py:44:51
	v_lshlrev_b64 v[158:159], 1, v[158:159]
	v_add_co_u32_e32 v158, vcc, v0, v158
	v_addc_co_u32_e32 v159, vcc, v51, v159, vcc
	.loc	1 45 20 is_stmt 1               ; attention_fwd.py:45:20
	global_load_ushort v155, v[158:159], off
.LBB0_80:                               ;   in Loop: Header=BB0_38 Depth=1
	.loc	1 0 20 is_stmt 0                ; attention_fwd.py:0:20
	s_or_b64 exec, exec, s[0:1]
	v_mov_b32_e32 v157, 0
	v_mov_b32_e32 v158, 0
	.loc	1 45 20                         ; attention_fwd.py:45:20
	s_mov_b64 s[0:1], exec
	v_readlane_b32 s2, v213, 20
	v_readlane_b32 s3, v213, 21
	s_and_b64 s[2:3], s[0:1], s[2:3]
	s_mov_b64 exec, s[2:3]
	s_cbranch_execz .LBB0_82
; %bb.81:                               ;   in Loop: Header=BB0_38 Depth=1
	.loc	1 44 39 is_stmt 1               ; attention_fwd.py:44:39
	v_readlane_b32 s2, v213, 9
	v_add_u32_e32 v158, s2, v80
	.loc	1 44 21 is_stmt 0               ; attention_fwd.py:44:21
	v_ashrrev_i32_e32 v159, 31, v158
	.loc	1 44 51                         ; attention_fwd.py:44:51
	v_lshlrev_b64 v[158:159], 1, v[158:159]
	v_add_co_u32_e32 v158, vcc, v0, v158
	v_addc_co_u32_e32 v159, vcc, v51, v159, vcc
	.loc	1 45 20 is_stmt 1               ; attention_fwd.py:45:20
	global_load_ushort v158, v[158:159], off
.LBB0_82:                               ;   in Loop: Header=BB0_38 Depth=1
	.loc	1 0 20 is_stmt 0                ; attention_fwd.py:0:20
	s_or_b64 exec, exec, s[0:1]
	.loc	1 45 20                         ; attention_fwd.py:45:20
	s_mov_b64 s[0:1], exec
	v_readlane_b32 s2, v213, 22
	v_readlane_b32 s3, v213, 23
	s_and_b64 s[2:3], s[0:1], s[2:3]
	;; [unrolled: 46-line block ×3, first 2 shown]
	s_mov_b64 exec, s[2:3]
	s_cbranch_execz .LBB0_88
; %bb.87:                               ;   in Loop: Header=BB0_38 Depth=1
	.loc	1 44 39 is_stmt 1               ; attention_fwd.py:44:39
	v_readlane_b32 s2, v213, 9
	v_add_u32_e32 v162, s2, v74
	.loc	1 44 21 is_stmt 0               ; attention_fwd.py:44:21
	v_ashrrev_i32_e32 v163, 31, v162
	.loc	1 44 51                         ; attention_fwd.py:44:51
	v_lshlrev_b64 v[162:163], 1, v[162:163]
	v_add_co_u32_e32 v162, vcc, v0, v162
	v_addc_co_u32_e32 v163, vcc, v51, v163, vcc
	.loc	1 45 20 is_stmt 1               ; attention_fwd.py:45:20
	global_load_ushort v159, v[162:163], off
.LBB0_88:                               ;   in Loop: Header=BB0_38 Depth=1
	.loc	1 0 20 is_stmt 0                ; attention_fwd.py:0:20
	s_or_b64 exec, exec, s[0:1]
	v_mov_b32_e32 v161, 0
	v_mov_b32_e32 v162, 0
	.loc	1 45 20                         ; attention_fwd.py:45:20
	s_and_saveexec_b64 s[0:1], s[20:21]
	s_cbranch_execz .LBB0_90
; %bb.89:                               ;   in Loop: Header=BB0_38 Depth=1
	.loc	1 44 39 is_stmt 1               ; attention_fwd.py:44:39
	v_readlane_b32 s2, v213, 9
	v_add_u32_e32 v162, s2, v72
	.loc	1 44 21 is_stmt 0               ; attention_fwd.py:44:21
	v_ashrrev_i32_e32 v163, 31, v162
	.loc	1 44 51                         ; attention_fwd.py:44:51
	v_lshlrev_b64 v[162:163], 1, v[162:163]
	v_add_co_u32_e32 v162, vcc, v0, v162
	v_addc_co_u32_e32 v163, vcc, v51, v163, vcc
	.loc	1 45 20 is_stmt 1               ; attention_fwd.py:45:20
	global_load_ushort v162, v[162:163], off
.LBB0_90:                               ;   in Loop: Header=BB0_38 Depth=1
	.loc	1 0 20 is_stmt 0                ; attention_fwd.py:0:20
	s_or_b64 exec, exec, s[0:1]
	.loc	1 45 20                         ; attention_fwd.py:45:20
	s_and_saveexec_b64 s[0:1], s[22:23]
	s_cbranch_execz .LBB0_92
; %bb.91:                               ;   in Loop: Header=BB0_38 Depth=1
	.loc	1 44 39 is_stmt 1               ; attention_fwd.py:44:39
	v_readlane_b32 s2, v213, 9
	v_add_u32_e32 v164, s2, v70
	.loc	1 44 21 is_stmt 0               ; attention_fwd.py:44:21
	v_ashrrev_i32_e32 v165, 31, v164
	.loc	1 44 51                         ; attention_fwd.py:44:51
	v_lshlrev_b64 v[164:165], 1, v[164:165]
	v_add_co_u32_e32 v164, vcc, v0, v164
	v_addc_co_u32_e32 v165, vcc, v51, v165, vcc
	.loc	1 45 20 is_stmt 1               ; attention_fwd.py:45:20
	global_load_ushort v161, v[164:165], off
.LBB0_92:                               ;   in Loop: Header=BB0_38 Depth=1
	.loc	1 0 20 is_stmt 0                ; attention_fwd.py:0:20
	s_or_b64 exec, exec, s[0:1]
	v_mov_b32_e32 v163, 0
	v_mov_b32_e32 v164, 0
	.loc	1 45 20                         ; attention_fwd.py:45:20
	s_and_saveexec_b64 s[0:1], s[24:25]
	s_cbranch_execz .LBB0_94
; %bb.93:                               ;   in Loop: Header=BB0_38 Depth=1
	.loc	1 44 39 is_stmt 1               ; attention_fwd.py:44:39
	v_readlane_b32 s2, v213, 9
	v_add_u32_e32 v164, s2, v68
	.loc	1 44 21 is_stmt 0               ; attention_fwd.py:44:21
	v_ashrrev_i32_e32 v165, 31, v164
	.loc	1 44 51                         ; attention_fwd.py:44:51
	v_lshlrev_b64 v[164:165], 1, v[164:165]
	v_add_co_u32_e32 v164, vcc, v0, v164
	v_addc_co_u32_e32 v165, vcc, v51, v165, vcc
	.loc	1 45 20 is_stmt 1               ; attention_fwd.py:45:20
	global_load_ushort v164, v[164:165], off
.LBB0_94:                               ;   in Loop: Header=BB0_38 Depth=1
	.loc	1 0 20 is_stmt 0                ; attention_fwd.py:0:20
	s_or_b64 exec, exec, s[0:1]
	.loc	1 45 20                         ; attention_fwd.py:45:20
	s_and_saveexec_b64 s[0:1], s[26:27]
	s_cbranch_execz .LBB0_96
; %bb.95:                               ;   in Loop: Header=BB0_38 Depth=1
	.loc	1 44 39 is_stmt 1               ; attention_fwd.py:44:39
	v_readlane_b32 s2, v213, 9
	v_add_u32_e32 v166, s2, v66
	.loc	1 44 21 is_stmt 0               ; attention_fwd.py:44:21
	v_ashrrev_i32_e32 v167, 31, v166
	.loc	1 44 51                         ; attention_fwd.py:44:51
	v_lshlrev_b64 v[166:167], 1, v[166:167]
	v_add_co_u32_e32 v166, vcc, v0, v166
	v_addc_co_u32_e32 v167, vcc, v51, v167, vcc
	.loc	1 45 20 is_stmt 1               ; attention_fwd.py:45:20
	global_load_ushort v163, v[166:167], off
.LBB0_96:                               ;   in Loop: Header=BB0_38 Depth=1
	.loc	1 0 20 is_stmt 0                ; attention_fwd.py:0:20
	s_or_b64 exec, exec, s[0:1]
	v_mov_b32_e32 v165, 0
	v_mov_b32_e32 v166, 0
	.loc	1 45 20                         ; attention_fwd.py:45:20
	s_and_saveexec_b64 s[0:1], s[28:29]
	s_cbranch_execnz .LBB0_99
; %bb.97:                               ;   in Loop: Header=BB0_38 Depth=1
	.loc	1 0 20                          ; attention_fwd.py:0:20
	s_or_b64 exec, exec, s[0:1]
	.loc	1 45 20                         ; attention_fwd.py:45:20
	s_and_saveexec_b64 s[0:1], s[30:31]
	s_cbranch_execnz .LBB0_100
.LBB0_98:                               ;   in Loop: Header=BB0_38 Depth=1
	.loc	1 0 20                          ; attention_fwd.py:0:20
	s_or_b64 exec, exec, s[0:1]
	v_mov_b32_e32 v167, 0
	.loc	1 45 20                         ; attention_fwd.py:45:20
	s_and_saveexec_b64 s[0:1], s[34:35]
	s_cbranch_execz .LBB0_37
	s_branch .LBB0_101
.LBB0_99:                               ;   in Loop: Header=BB0_38 Depth=1
	.loc	1 44 39 is_stmt 1               ; attention_fwd.py:44:39
	v_readlane_b32 s2, v213, 9
	v_add_u32_e32 v166, s2, v64
	.loc	1 44 21 is_stmt 0               ; attention_fwd.py:44:21
	v_ashrrev_i32_e32 v167, 31, v166
	.loc	1 44 51                         ; attention_fwd.py:44:51
	v_lshlrev_b64 v[166:167], 1, v[166:167]
	v_add_co_u32_e32 v166, vcc, v0, v166
	v_addc_co_u32_e32 v167, vcc, v51, v167, vcc
	.loc	1 45 20 is_stmt 1               ; attention_fwd.py:45:20
	global_load_ushort v166, v[166:167], off
	s_or_b64 exec, exec, s[0:1]
	s_and_saveexec_b64 s[0:1], s[30:31]
	s_cbranch_execz .LBB0_98
.LBB0_100:                              ;   in Loop: Header=BB0_38 Depth=1
	.loc	1 44 39                         ; attention_fwd.py:44:39
	v_readlane_b32 s2, v213, 9
	v_add_u32_e32 v168, s2, v62
	.loc	1 44 21 is_stmt 0               ; attention_fwd.py:44:21
	v_ashrrev_i32_e32 v169, 31, v168
	.loc	1 44 51                         ; attention_fwd.py:44:51
	v_lshlrev_b64 v[168:169], 1, v[168:169]
	v_add_co_u32_e32 v168, vcc, v0, v168
	v_addc_co_u32_e32 v169, vcc, v51, v169, vcc
	.loc	1 45 20 is_stmt 1               ; attention_fwd.py:45:20
	global_load_ushort v165, v[168:169], off
	s_or_b64 exec, exec, s[0:1]
	v_mov_b32_e32 v167, 0
	s_and_saveexec_b64 s[0:1], s[34:35]
	s_cbranch_execz .LBB0_37
.LBB0_101:                              ;   in Loop: Header=BB0_38 Depth=1
	.loc	1 44 21                         ; attention_fwd.py:44:21
	v_readlane_b32 s2, v213, 9
	v_add_u32_e32 v168, s2, v60
	v_ashrrev_i32_e32 v169, 31, v168
	.loc	1 44 51 is_stmt 0               ; attention_fwd.py:44:51
	v_lshlrev_b64 v[168:169], 1, v[168:169]
	v_add_co_u32_e32 v168, vcc, v0, v168
	v_addc_co_u32_e32 v169, vcc, v51, v169, vcc
	.loc	1 45 20 is_stmt 1               ; attention_fwd.py:45:20
	global_load_ushort v167, v[168:169], off
	s_branch .LBB0_37
.LBB0_102:                              ; %Flow249
	.loc	1 0 20 is_stmt 0                ; attention_fwd.py:0:20
	v_readlane_b32 s2, v213, 2
	v_readlane_b32 s3, v213, 3
	s_load_dwordx2 s[0:1], s[2:3], 0x3c
	.loc	1 17 46 is_stmt 1               ; attention_fwd.py:17:46
	v_lshrrev_b32_e32 v0, 2, v54
	.loc	1 17 33 is_stmt 0               ; attention_fwd.py:17:33
	v_readlane_b32 s2, v213, 4
	v_or3_b32 v18, v53, v0, s2
	.loc	1 48 16 is_stmt 1               ; attention_fwd.py:48:16
	v_add_u32_e32 v19, 0, v55
	.loc	1 21 47                         ; attention_fwd.py:21:47
	v_cmp_gt_i32_e32 vcc, s33, v18
	.loc	1 48 16                         ; attention_fwd.py:48:16
	v_add_u32_e32 v0, v19, v56
	s_waitcnt lgkmcnt(0)
	s_barrier
	ds_write_b32 v0, v21
	s_waitcnt lgkmcnt(0)
	s_barrier
	.loc	1 50 23                         ; attention_fwd.py:50:23
	s_and_saveexec_b64 s[2:3], vcc
	s_cbranch_execz .LBB0_104
; %bb.103:                              ; %.critedge
	.loc	1 48 16                         ; attention_fwd.py:48:16
	v_add_u32_e32 v19, v19, v54
	ds_read_b32 v32, v19
	.loc	1 20 54                         ; attention_fwd.py:20:54
	v_or_b32_e32 v0, v57, v58
	v_or_b32_e32 v35, 27, v0
	v_or_b32_e32 v34, 26, v0
	v_or_b32_e32 v33, 25, v0
	.loc	1 48 16                         ; attention_fwd.py:48:16
	s_waitcnt lgkmcnt(0)
	v_div_scale_f32 v29, s[2:3], v32, v32, v17
	v_rcp_f32_e32 v31, v29
	s_movk_i32 s2, 0x7fff
	.loc	1 20 54                         ; attention_fwd.py:20:54
	v_or_b32_e32 v27, 24, v0
	v_or_b32_e32 v25, 19, v0
	.loc	1 48 16                         ; attention_fwd.py:48:16
	v_fma_f32 v36, -v29, v31, 1.0
	v_fmac_f32_e32 v31, v36, v31
	v_div_scale_f32 v36, vcc, v17, v32, v17
	v_mul_f32_e32 v37, v36, v31
	v_fma_f32 v38, -v29, v37, v36
	v_fmac_f32_e32 v37, v38, v31
	v_fma_f32 v29, -v29, v37, v36
	v_div_fmas_f32 v29, v29, v31, v37
	v_div_scale_f32 v31, s[4:5], v32, v32, v16
	v_rcp_f32_e32 v36, v31
	v_div_fixup_f32 v17, v29, v32, v17
	.loc	1 50 30                         ; attention_fwd.py:50:30
	v_bfe_u32 v29, v17, 16, 1
	v_add3_u32 v29, v17, v29, s2
	v_lshrrev_b32_e32 v29, 16, v29
	v_mov_b32_e32 v37, 0x7fff
	v_cmp_o_f32_e32 vcc, v17, v17
	.loc	1 48 16                         ; attention_fwd.py:48:16
	v_fma_f32 v17, -v31, v36, 1.0
	.loc	1 50 30                         ; attention_fwd.py:50:30
	v_cndmask_b32_e32 v38, v37, v29, vcc
	.loc	1 48 16                         ; attention_fwd.py:48:16
	v_fmac_f32_e32 v36, v17, v36
	v_div_scale_f32 v17, vcc, v16, v32, v16
	v_mul_f32_e32 v29, v17, v36
	v_fma_f32 v39, -v31, v29, v17
	v_fmac_f32_e32 v29, v39, v36
	v_fma_f32 v17, -v31, v29, v17
	v_div_fmas_f32 v17, v17, v36, v29
	v_div_scale_f32 v29, s[4:5], v32, v32, v15
	v_rcp_f32_e32 v31, v29
	v_div_fixup_f32 v16, v17, v32, v16
	.loc	1 50 30                         ; attention_fwd.py:50:30
	v_bfe_u32 v17, v16, 16, 1
	v_add3_u32 v17, v16, v17, s2
	v_lshrrev_b32_e32 v17, 16, v17
	v_cmp_o_f32_e32 vcc, v16, v16
	.loc	1 48 16                         ; attention_fwd.py:48:16
	v_fma_f32 v16, -v29, v31, 1.0
	.loc	1 50 30                         ; attention_fwd.py:50:30
	v_cndmask_b32_e32 v36, v37, v17, vcc
	.loc	1 48 16                         ; attention_fwd.py:48:16
	v_fmac_f32_e32 v31, v16, v31
	v_div_scale_f32 v16, vcc, v15, v32, v15
	v_mul_f32_e32 v17, v16, v31
	v_fma_f32 v39, -v29, v17, v16
	v_fmac_f32_e32 v17, v39, v31
	v_fma_f32 v16, -v29, v17, v16
	v_div_fmas_f32 v16, v16, v31, v17
	v_div_scale_f32 v17, s[4:5], v32, v32, v14
	v_rcp_f32_e32 v29, v17
	v_div_fixup_f32 v15, v16, v32, v15
	.loc	1 50 30                         ; attention_fwd.py:50:30
	v_bfe_u32 v16, v15, 16, 1
	v_add3_u32 v16, v15, v16, s2
	v_lshrrev_b32_e32 v16, 16, v16
	;; [unrolled: 20-line block ×12, first 2 shown]
	v_cmp_o_f32_e32 vcc, v5, v5
	.loc	1 48 16                         ; attention_fwd.py:48:16
	v_fma_f32 v5, -v7, v8, 1.0
	.loc	1 50 30                         ; attention_fwd.py:50:30
	v_cndmask_b32_e32 v49, v37, v6, vcc
	.loc	1 48 16                         ; attention_fwd.py:48:16
	v_fmac_f32_e32 v8, v5, v8
	v_div_scale_f32 v5, vcc, v4, v32, v4
	v_mul_f32_e32 v6, v5, v8
	v_fma_f32 v9, -v7, v6, v5
	v_fmac_f32_e32 v6, v9, v8
	v_fma_f32 v5, -v7, v6, v5
	v_div_fmas_f32 v5, v5, v8, v6
	v_div_fixup_f32 v4, v5, v32, v4
	.loc	1 50 30                         ; attention_fwd.py:50:30
	v_bfe_u32 v5, v4, 16, 1
	v_add3_u32 v5, v4, v5, s2
	v_lshrrev_b32_e32 v5, 16, v5
	v_cmp_o_f32_e32 vcc, v4, v4
	.loc	1 49 39                         ; attention_fwd.py:49:39
	v_mul_lo_u32 v4, s0, v18
	.loc	1 50 30                         ; attention_fwd.py:50:30
	v_cndmask_b32_e32 v50, v37, v5, vcc
	.loc	1 49 21                         ; attention_fwd.py:49:21
	v_ashrrev_i32_e32 v5, 31, v4
	v_readlane_b32 s4, v213, 0
	v_lshlrev_b64 v[4:5], 1, v[4:5]
	v_readlane_b32 s5, v213, 1
	v_mov_b32_e32 v6, s5
	v_add_co_u32_e32 v51, vcc, s4, v4
	.loc	1 49 69 is_stmt 0               ; attention_fwd.py:49:69
	v_mul_lo_u32 v4, s1, v35
	.loc	1 49 21                         ; attention_fwd.py:49:21
	v_addc_co_u32_e32 v52, vcc, v6, v5, vcc
	.loc	1 49 51                         ; attention_fwd.py:49:51
	v_ashrrev_i32_e32 v5, 31, v4
	v_lshlrev_b64 v[4:5], 1, v[4:5]
	.loc	1 49 69                         ; attention_fwd.py:49:69
	v_mul_lo_u32 v6, s1, v34
	.loc	1 49 51                         ; attention_fwd.py:49:51
	v_add_co_u32_e32 v4, vcc, v51, v4
	v_ashrrev_i32_e32 v7, 31, v6
	v_addc_co_u32_e32 v5, vcc, v52, v5, vcc
	v_lshlrev_b64 v[6:7], 1, v[6:7]
	.loc	1 49 69                         ; attention_fwd.py:49:69
	v_mul_lo_u32 v8, s1, v33
	.loc	1 49 51                         ; attention_fwd.py:49:51
	v_add_co_u32_e32 v6, vcc, v51, v6
	v_ashrrev_i32_e32 v9, 31, v8
	v_addc_co_u32_e32 v7, vcc, v52, v7, vcc
	;; [unrolled: 7-line block ×3, first 2 shown]
	v_lshlrev_b64 v[10:11], 1, v[10:11]
	.loc	1 49 69                         ; attention_fwd.py:49:69
	v_mul_lo_u32 v12, s1, v25
	.loc	1 20 54 is_stmt 1               ; attention_fwd.py:20:54
	v_or_b32_e32 v19, 18, v0
	.loc	1 49 51                         ; attention_fwd.py:49:51
	v_add_co_u32_e32 v10, vcc, v51, v10
	v_ashrrev_i32_e32 v13, 31, v12
	v_addc_co_u32_e32 v11, vcc, v52, v11, vcc
	v_lshlrev_b64 v[12:13], 1, v[12:13]
	.loc	1 49 69 is_stmt 0               ; attention_fwd.py:49:69
	v_mul_lo_u32 v14, s1, v19
	.loc	1 20 54 is_stmt 1               ; attention_fwd.py:20:54
	v_or_b32_e32 v23, 17, v0
	.loc	1 49 51                         ; attention_fwd.py:49:51
	v_add_co_u32_e32 v12, vcc, v51, v12
	v_ashrrev_i32_e32 v15, 31, v14
	v_addc_co_u32_e32 v13, vcc, v52, v13, vcc
	v_lshlrev_b64 v[14:15], 1, v[14:15]
	.loc	1 49 69 is_stmt 0               ; attention_fwd.py:49:69
	;; [unrolled: 9-line block ×8, first 2 shown]
	v_mul_lo_u32 v28, s1, v28
	.loc	1 20 54 is_stmt 1               ; attention_fwd.py:20:54
	v_or_b32_e32 v30, 2, v0
	.loc	1 49 51                         ; attention_fwd.py:49:51
	v_add_co_u32_e32 v26, vcc, v51, v26
	v_ashrrev_i32_e32 v29, 31, v28
	.loc	1 48 16                         ; attention_fwd.py:48:16
	v_div_scale_f32 v33, s[4:5], v32, v32, v2
	.loc	1 49 51                         ; attention_fwd.py:49:51
	v_addc_co_u32_e32 v27, vcc, v52, v27, vcc
	v_lshlrev_b64 v[28:29], 1, v[28:29]
	.loc	1 49 69 is_stmt 0               ; attention_fwd.py:49:69
	v_mul_lo_u32 v30, s1, v30
	.loc	1 48 16 is_stmt 1               ; attention_fwd.py:48:16
	v_rcp_f32_e32 v34, v33
	.loc	1 49 51                         ; attention_fwd.py:49:51
	v_add_co_u32_e32 v28, vcc, v51, v28
	v_ashrrev_i32_e32 v31, 31, v30
	v_addc_co_u32_e32 v29, vcc, v52, v29, vcc
	v_lshlrev_b64 v[30:31], 1, v[30:31]
	v_add_co_u32_e32 v30, vcc, v51, v30
	v_addc_co_u32_e32 v31, vcc, v52, v31, vcc
	.loc	1 48 16                         ; attention_fwd.py:48:16
	v_fma_f32 v35, -v33, v34, 1.0
	v_fmac_f32_e32 v34, v35, v34
	v_div_scale_f32 v35, vcc, v2, v32, v2
	v_mul_f32_e32 v53, v35, v34
	v_fma_f32 v54, -v33, v53, v35
	v_fmac_f32_e32 v53, v54, v34
	v_fma_f32 v33, -v33, v53, v35
	v_div_fmas_f32 v33, v33, v34, v53
	v_div_scale_f32 v34, s[4:5], v32, v32, v3
	v_rcp_f32_e32 v35, v34
	v_div_fixup_f32 v2, v33, v32, v2
	.loc	1 50 30                         ; attention_fwd.py:50:30
	v_bfe_u32 v33, v2, 16, 1
	v_add3_u32 v33, v2, v33, s2
	v_lshrrev_b32_e32 v33, 16, v33
	v_cmp_o_f32_e32 vcc, v2, v2
	.loc	1 48 16                         ; attention_fwd.py:48:16
	v_fma_f32 v2, -v34, v35, 1.0
	.loc	1 50 30                         ; attention_fwd.py:50:30
	v_cndmask_b32_e32 v33, v37, v33, vcc
	.loc	1 48 16                         ; attention_fwd.py:48:16
	v_fmac_f32_e32 v35, v2, v35
	v_div_scale_f32 v2, vcc, v3, v32, v3
	v_mul_f32_e32 v53, v2, v35
	v_fma_f32 v54, -v34, v53, v2
	v_fmac_f32_e32 v53, v54, v35
	v_fma_f32 v2, -v34, v53, v2
	v_div_fmas_f32 v2, v2, v35, v53
	v_div_fixup_f32 v2, v2, v32, v3
	.loc	1 50 30                         ; attention_fwd.py:50:30
	v_bfe_u32 v3, v2, 16, 1
	.loc	1 20 54                         ; attention_fwd.py:20:54
	v_or_b32_e32 v1, 1, v0
	.loc	1 50 30                         ; attention_fwd.py:50:30
	v_add3_u32 v3, v2, v3, s2
	v_lshrrev_b32_e32 v3, 16, v3
	v_cmp_o_f32_e32 vcc, v2, v2
	.loc	1 49 69                         ; attention_fwd.py:49:69
	v_mul_lo_u32 v2, s1, v1
	.loc	1 50 30                         ; attention_fwd.py:50:30
	v_cndmask_b32_e32 v32, v37, v3, vcc
	.loc	1 49 51                         ; attention_fwd.py:49:51
	v_ashrrev_i32_e32 v3, 31, v2
	v_lshlrev_b64 v[2:3], 1, v[2:3]
	.loc	1 49 69 is_stmt 0               ; attention_fwd.py:49:69
	v_mul_lo_u32 v0, s1, v0
	.loc	1 49 51                         ; attention_fwd.py:49:51
	v_add_co_u32_e32 v2, vcc, v51, v2
	v_ashrrev_i32_e32 v1, 31, v0
	v_addc_co_u32_e32 v3, vcc, v52, v3, vcc
	v_lshlrev_b64 v[0:1], 1, v[0:1]
	v_add_co_u32_e32 v0, vcc, v51, v0
	v_addc_co_u32_e32 v1, vcc, v52, v1, vcc
	.loc	1 50 23 is_stmt 1               ; attention_fwd.py:50:23
	global_store_short v[0:1], v33, off
	global_store_short v[2:3], v32, off
	;; [unrolled: 1-line block ×16, first 2 shown]
.LBB0_104:                              ; %.critedge28
	.loc	1 50 4 is_stmt 0                ; attention_fwd.py:50:4
	s_endpgm
.Ltmp39:
	.section	.rodata,"a",@progbits
	.p2align	6, 0x0
	.amdhsa_kernel attention_fwd_kernel
		.amdhsa_group_segment_fixed_size 0
		.amdhsa_private_segment_fixed_size 0
		.amdhsa_kernarg_size 88
		.amdhsa_user_sgpr_count 16
		.amdhsa_user_sgpr_private_segment_buffer 1
		.amdhsa_user_sgpr_dispatch_ptr 0
		.amdhsa_user_sgpr_queue_ptr 0
		.amdhsa_user_sgpr_kernarg_segment_ptr 1
		.amdhsa_user_sgpr_dispatch_id 0
		.amdhsa_user_sgpr_flat_scratch_init 0
		.amdhsa_user_sgpr_kernarg_preload_length 10
		.amdhsa_user_sgpr_kernarg_preload_offset 0
		.amdhsa_user_sgpr_private_segment_size 0
		.amdhsa_uses_dynamic_stack 0
		.amdhsa_system_sgpr_private_segment_wavefront_offset 0
		.amdhsa_system_sgpr_workgroup_id_x 1
		.amdhsa_system_sgpr_workgroup_id_y 0
		.amdhsa_system_sgpr_workgroup_id_z 0
		.amdhsa_system_sgpr_workgroup_info 0
		.amdhsa_system_vgpr_workitem_id 0
		.amdhsa_next_free_vgpr 214
		.amdhsa_next_free_sgpr 96
		.amdhsa_accum_offset 216
		.amdhsa_reserve_vcc 1
		.amdhsa_reserve_flat_scratch 0
		.amdhsa_reserve_xnack_mask 1
		.amdhsa_float_round_mode_32 0
		.amdhsa_float_round_mode_16_64 0
		.amdhsa_float_denorm_mode_32 3
		.amdhsa_float_denorm_mode_16_64 3
		.amdhsa_dx10_clamp 1
		.amdhsa_ieee_mode 1
		.amdhsa_fp16_overflow 0
		.amdhsa_tg_split 0
		.amdhsa_exception_fp_ieee_invalid_op 0
		.amdhsa_exception_fp_denorm_src 0
		.amdhsa_exception_fp_ieee_div_zero 0
		.amdhsa_exception_fp_ieee_overflow 0
		.amdhsa_exception_fp_ieee_underflow 0
		.amdhsa_exception_fp_ieee_inexact 0
		.amdhsa_exception_int_div_zero 0
	.end_amdhsa_kernel
	.text
.Lfunc_end0:
	.size	attention_fwd_kernel, .Lfunc_end0-attention_fwd_kernel
	.cfi_endproc
                                        ; -- End function
	.set attention_fwd_kernel.num_vgpr, 214
	.set attention_fwd_kernel.num_agpr, 0
	.set attention_fwd_kernel.numbered_sgpr, 96
	.set attention_fwd_kernel.num_named_barrier, 0
	.set attention_fwd_kernel.private_seg_size, 0
	.set attention_fwd_kernel.uses_vcc, 1
	.set attention_fwd_kernel.uses_flat_scratch, 0
	.set attention_fwd_kernel.has_dyn_sized_stack, 0
	.set attention_fwd_kernel.has_recursion, 0
	.set attention_fwd_kernel.has_indirect_call, 0
	.section	.AMDGPU.csdata,"",@progbits
; Kernel info:
; codeLenInByte = 14308
; TotalNumSgprs: 100
; NumVgprs: 214
; NumAgprs: 0
; TotalNumVgprs: 214
; ScratchSize: 0
; MemoryBound: 0
; FloatMode: 240
; IeeeMode: 1
; LDSByteSize: 0 bytes/workgroup (compile time only)
; SGPRBlocks: 12
; VGPRBlocks: 26
; NumSGPRsForWavesPerEU: 100
; NumVGPRsForWavesPerEU: 214
; AccumOffset: 216
; Occupancy: 2
; WaveLimiterHint : 0
; COMPUTE_PGM_RSRC2:SCRATCH_EN: 0
; COMPUTE_PGM_RSRC2:USER_SGPR: 16
; COMPUTE_PGM_RSRC2:TRAP_HANDLER: 0
; COMPUTE_PGM_RSRC2:TGID_X_EN: 1
; COMPUTE_PGM_RSRC2:TGID_Y_EN: 0
; COMPUTE_PGM_RSRC2:TGID_Z_EN: 0
; COMPUTE_PGM_RSRC2:TIDIG_COMP_CNT: 0
; COMPUTE_PGM_RSRC3_GFX90A:ACCUM_OFFSET: 53
; COMPUTE_PGM_RSRC3_GFX90A:TG_SPLIT: 0
	.text
	.p2alignl 6, 3212836864
	.fill 256, 4, 3212836864
	.section	.AMDGPU.gpr_maximums,"",@progbits
	.set amdgpu.max_num_vgpr, 0
	.set amdgpu.max_num_agpr, 0
	.set amdgpu.max_num_sgpr, 0
	.set amdgpu.max_num_named_barrier, 0
	.text
	.section	.debug_abbrev,"",@progbits
	.byte	1                               ; Abbreviation Code
	.byte	17                              ; DW_TAG_compile_unit
	.byte	1                               ; DW_CHILDREN_yes
	.byte	37                              ; DW_AT_producer
	.byte	14                              ; DW_FORM_strp
	.byte	19                              ; DW_AT_language
	.byte	5                               ; DW_FORM_data2
	.byte	3                               ; DW_AT_name
	.byte	14                              ; DW_FORM_strp
	.byte	16                              ; DW_AT_stmt_list
	.byte	23                              ; DW_FORM_sec_offset
	.byte	27                              ; DW_AT_comp_dir
	.byte	14                              ; DW_FORM_strp
	.byte	17                              ; DW_AT_low_pc
	.byte	1                               ; DW_FORM_addr
	.byte	18                              ; DW_AT_high_pc
	.byte	6                               ; DW_FORM_data4
	.byte	0                               ; EOM(1)
	.byte	0                               ; EOM(2)
	.byte	2                               ; Abbreviation Code
	.byte	46                              ; DW_TAG_subprogram
	.byte	0                               ; DW_CHILDREN_no
	.byte	3                               ; DW_AT_name
	.byte	14                              ; DW_FORM_strp
	.byte	32                              ; DW_AT_inline
	.byte	11                              ; DW_FORM_data1
	.byte	0                               ; EOM(1)
	.byte	0                               ; EOM(2)
	.byte	3                               ; Abbreviation Code
	.byte	46                              ; DW_TAG_subprogram
	.byte	1                               ; DW_CHILDREN_yes
	.byte	17                              ; DW_AT_low_pc
	.byte	1                               ; DW_FORM_addr
	.byte	18                              ; DW_AT_high_pc
	.byte	6                               ; DW_FORM_data4
	.byte	49                              ; DW_AT_abstract_origin
	.byte	19                              ; DW_FORM_ref4
	.byte	0                               ; EOM(1)
	.byte	0                               ; EOM(2)
	.byte	4                               ; Abbreviation Code
	.byte	29                              ; DW_TAG_inlined_subroutine
	.byte	1                               ; DW_CHILDREN_yes
	.byte	49                              ; DW_AT_abstract_origin
	.byte	19                              ; DW_FORM_ref4
	.byte	85                              ; DW_AT_ranges
	.byte	23                              ; DW_FORM_sec_offset
	.byte	88                              ; DW_AT_call_file
	.byte	11                              ; DW_FORM_data1
	.byte	89                              ; DW_AT_call_line
	.byte	11                              ; DW_FORM_data1
	.byte	87                              ; DW_AT_call_column
	.byte	11                              ; DW_FORM_data1
	.byte	0                               ; EOM(1)
	.byte	0                               ; EOM(2)
	.byte	5                               ; Abbreviation Code
	.byte	29                              ; DW_TAG_inlined_subroutine
	.byte	0                               ; DW_CHILDREN_no
	.byte	49                              ; DW_AT_abstract_origin
	.byte	19                              ; DW_FORM_ref4
	.byte	85                              ; DW_AT_ranges
	.byte	23                              ; DW_FORM_sec_offset
	.byte	88                              ; DW_AT_call_file
	.byte	11                              ; DW_FORM_data1
	.byte	89                              ; DW_AT_call_line
	.byte	5                               ; DW_FORM_data2
	.byte	87                              ; DW_AT_call_column
	.byte	11                              ; DW_FORM_data1
	.byte	0                               ; EOM(1)
	.byte	0                               ; EOM(2)
	.byte	6                               ; Abbreviation Code
	.byte	29                              ; DW_TAG_inlined_subroutine
	.byte	0                               ; DW_CHILDREN_no
	.byte	49                              ; DW_AT_abstract_origin
	.byte	19                              ; DW_FORM_ref4
	.byte	85                              ; DW_AT_ranges
	.byte	23                              ; DW_FORM_sec_offset
	.byte	88                              ; DW_AT_call_file
	.byte	11                              ; DW_FORM_data1
	.byte	89                              ; DW_AT_call_line
	.byte	11                              ; DW_FORM_data1
	.byte	87                              ; DW_AT_call_column
	.byte	11                              ; DW_FORM_data1
	.byte	0                               ; EOM(1)
	.byte	0                               ; EOM(2)
	;; [unrolled: 1-line block ×3, first 2 shown]
	.section	.debug_info,"",@progbits
.Lcu_begin0:
	.long	.Ldebug_info_end0-.Ldebug_info_start0 ; Length of Unit
.Ldebug_info_start0:
	.short	4                               ; DWARF version number
	.long	.debug_abbrev                   ; Offset Into Abbrev. Section
	.byte	8                               ; Address Size (in bytes)
	.byte	1                               ; Abbrev [1] 0xb:0x6b DW_TAG_compile_unit
	.long	.Linfo_string0                  ; DW_AT_producer
	.short	2                               ; DW_AT_language
	.long	.Linfo_string1                  ; DW_AT_name
	.long	.Lline_table_start0             ; DW_AT_stmt_list
	.long	.Linfo_string2                  ; DW_AT_comp_dir
	.quad	.Lfunc_begin0                   ; DW_AT_low_pc
	.long	.Lfunc_end0-.Lfunc_begin0       ; DW_AT_high_pc
	.byte	2                               ; Abbrev [2] 0x2a:0x6 DW_TAG_subprogram
	.long	.Linfo_string3                  ; DW_AT_name
	.byte	1                               ; DW_AT_inline
	.byte	3                               ; Abbrev [3] 0x30:0x45 DW_TAG_subprogram
	.quad	.Lfunc_begin0                   ; DW_AT_low_pc
	.long	.Lfunc_end0-.Lfunc_begin0       ; DW_AT_high_pc
	.long	42                              ; DW_AT_abstract_origin
	.byte	4                               ; Abbrev [4] 0x41:0x1a DW_TAG_inlined_subroutine
	.long	42                              ; DW_AT_abstract_origin
	.long	.Ldebug_ranges0                 ; DW_AT_ranges
	.byte	1                               ; DW_AT_call_file
	.byte	42                              ; DW_AT_call_line
	.byte	38                              ; DW_AT_call_column
	.byte	5                               ; Abbrev [5] 0x4d:0xd DW_TAG_inlined_subroutine
	.long	42                              ; DW_AT_abstract_origin
	.long	.Ldebug_ranges1                 ; DW_AT_ranges
	.byte	2                               ; DW_AT_call_file
	.short	293                             ; DW_AT_call_line
	.byte	36                              ; DW_AT_call_column
	.byte	0                               ; End Of Children Mark
	.byte	4                               ; Abbrev [4] 0x5b:0x19 DW_TAG_inlined_subroutine
	.long	42                              ; DW_AT_abstract_origin
	.long	.Ldebug_ranges2                 ; DW_AT_ranges
	.byte	1                               ; DW_AT_call_file
	.byte	39                              ; DW_AT_call_line
	.byte	42                              ; DW_AT_call_column
	.byte	6                               ; Abbrev [6] 0x67:0xc DW_TAG_inlined_subroutine
	.long	42                              ; DW_AT_abstract_origin
	.long	.Ldebug_ranges3                 ; DW_AT_ranges
	.byte	2                               ; DW_AT_call_file
	.byte	191                             ; DW_AT_call_line
	.byte	40                              ; DW_AT_call_column
	.byte	0                               ; End Of Children Mark
	.byte	0                               ; End Of Children Mark
	;; [unrolled: 1-line block ×3, first 2 shown]
.Ldebug_info_end0:
	.section	.debug_ranges,"",@progbits
.Ldebug_ranges0:
	.quad	.Ltmp2-.Lfunc_begin0
	.quad	.Ltmp3-.Lfunc_begin0
	.quad	.Ltmp35-.Lfunc_begin0
	.quad	.Ltmp36-.Lfunc_begin0
	.quad	.Ltmp37-.Lfunc_begin0
	.quad	.Ltmp38-.Lfunc_begin0
	.quad	0
	.quad	0
.Ldebug_ranges1:
	.quad	.Ltmp2-.Lfunc_begin0
	.quad	.Ltmp3-.Lfunc_begin0
	;; [unrolled: 1-line block ×4, first 2 shown]
	.quad	0
	.quad	0
.Ldebug_ranges2:
	.quad	.Ltmp4-.Lfunc_begin0
	.quad	.Ltmp5-.Lfunc_begin0
	;; [unrolled: 1-line block ×30, first 2 shown]
	.quad	0
	.quad	0
.Ldebug_ranges3:
	.quad	.Ltmp4-.Lfunc_begin0
	.quad	.Ltmp5-.Lfunc_begin0
	;; [unrolled: 1-line block ×30, first 2 shown]
	.quad	0
	.quad	0
	.section	.debug_str,"MS",@progbits,1
.Linfo_string0:
	.asciz	"triton"                        ; string offset=0
.Linfo_string1:
	.asciz	"attention_fwd.py"              ; string offset=7
.Linfo_string2:
	.asciz	"/root/src/amdgpu-assembly/repos/triton-lang__triton-aot" ; string offset=24
.Linfo_string3:
	.asciz	"attention_fwd_kernel"          ; string offset=80
	.section	".note.GNU-stack","",@progbits
	.amdgpu_metadata
---
amdhsa.kernels:
  - .agpr_count:     0
    .args:
      - .address_space:  global
        .offset:         0
        .size:           8
        .value_kind:     global_buffer
      - .address_space:  global
        .offset:         8
        .size:           8
        .value_kind:     global_buffer
      - .address_space:  global
        .offset:         16
        .size:           8
        .value_kind:     global_buffer
      - .address_space:  global
        .offset:         24
        .size:           8
        .value_kind:     global_buffer
      - .offset:         32
        .size:           4
        .value_kind:     by_value
      - .offset:         36
        .size:           4
        .value_kind:     by_value
      - .offset:         40
        .size:           4
        .value_kind:     by_value
      - .offset:         44
        .size:           4
        .value_kind:     by_value
      - .offset:         48
        .size:           4
        .value_kind:     by_value
      - .offset:         52
        .size:           4
        .value_kind:     by_value
      - .offset:         56
        .size:           4
        .value_kind:     by_value
      - .offset:         60
        .size:           4
        .value_kind:     by_value
      - .offset:         64
        .size:           4
        .value_kind:     by_value
      - .offset:         68
        .size:           4
        .value_kind:     by_value
      - .address_space:  global
        .offset:         72
        .size:           8
        .value_kind:     global_buffer
      - .address_space:  global
        .offset:         80
        .size:           8
        .value_kind:     global_buffer
    .group_segment_fixed_size: 0
    .kernarg_segment_align: 8
    .kernarg_segment_size: 88
    .max_flat_workgroup_size: 256
    .name:           attention_fwd_kernel
    .private_segment_fixed_size: 0
    .sgpr_count:     100
    .sgpr_spill_count: 31
    .symbol:         attention_fwd_kernel.kd
    .uniform_work_group_size: 1
    .uses_dynamic_stack: false
    .vgpr_count:     214
    .vgpr_spill_count: 0
    .wavefront_size: 64
amdhsa.target:   amdgcn-amd-amdhsa--gfx90a
amdhsa.version:
  - 1
  - 2
...

	.end_amdgpu_metadata
	.section	.debug_line,"",@progbits
.Lline_table_start0:
